;; amdgpu-corpus repo=pytorch/pytorch kind=compiled arch=gfx906 opt=O3
	.amdgcn_target "amdgcn-amd-amdhsa--gfx906"
	.amdhsa_code_object_version 6
	.section	.text._ZN12_GLOBAL__N_141elementwise_kernel_with_index_grid_strideIiZZZN2at6native17linspace_cuda_outERKN3c106ScalarES6_lRNS1_6TensorEENKUlvE_clEvENKUlvE_clEvEUllE_EEvT_T0_PN15function_traitsISD_E11result_typeE,"axG",@progbits,_ZN12_GLOBAL__N_141elementwise_kernel_with_index_grid_strideIiZZZN2at6native17linspace_cuda_outERKN3c106ScalarES6_lRNS1_6TensorEENKUlvE_clEvENKUlvE_clEvEUllE_EEvT_T0_PN15function_traitsISD_E11result_typeE,comdat
	.globl	_ZN12_GLOBAL__N_141elementwise_kernel_with_index_grid_strideIiZZZN2at6native17linspace_cuda_outERKN3c106ScalarES6_lRNS1_6TensorEENKUlvE_clEvENKUlvE_clEvEUllE_EEvT_T0_PN15function_traitsISD_E11result_typeE ; -- Begin function _ZN12_GLOBAL__N_141elementwise_kernel_with_index_grid_strideIiZZZN2at6native17linspace_cuda_outERKN3c106ScalarES6_lRNS1_6TensorEENKUlvE_clEvENKUlvE_clEvEUllE_EEvT_T0_PN15function_traitsISD_E11result_typeE
	.p2align	8
	.type	_ZN12_GLOBAL__N_141elementwise_kernel_with_index_grid_strideIiZZZN2at6native17linspace_cuda_outERKN3c106ScalarES6_lRNS1_6TensorEENKUlvE_clEvENKUlvE_clEvEUllE_EEvT_T0_PN15function_traitsISD_E11result_typeE,@function
_ZN12_GLOBAL__N_141elementwise_kernel_with_index_grid_strideIiZZZN2at6native17linspace_cuda_outERKN3c106ScalarES6_lRNS1_6TensorEENKUlvE_clEvENKUlvE_clEvEUllE_EEvT_T0_PN15function_traitsISD_E11result_typeE: ; @_ZN12_GLOBAL__N_141elementwise_kernel_with_index_grid_strideIiZZZN2at6native17linspace_cuda_outERKN3c106ScalarES6_lRNS1_6TensorEENKUlvE_clEvENKUlvE_clEvEUllE_EEvT_T0_PN15function_traitsISD_E11result_typeE
; %bb.0:
	s_load_dword s2, s[4:5], 0x3c
	s_load_dword s24, s[4:5], 0x0
	s_add_u32 s0, s4, 48
	s_addc_u32 s1, s5, 0
	s_waitcnt lgkmcnt(0)
	s_and_b32 s2, s2, 0xffff
	s_mul_i32 s3, s6, s2
	v_add_u32_e32 v1, s3, v0
	v_cmp_gt_i32_e32 vcc, s24, v1
	s_and_saveexec_b64 s[8:9], vcc
	s_cbranch_execz .LBB0_12
; %bb.1:
	s_load_dword s0, s[0:1], 0x0
	s_waitcnt lgkmcnt(0)
	s_mul_i32 s25, s0, s2
	v_cvt_f32_u32_e32 v2, s25
	s_sub_i32 s1, 0, s25
	s_add_i32 s0, s6, s0
	s_mul_i32 s0, s0, s2
	v_rcp_iflag_f32_e32 v2, v2
	v_add_u32_e32 v4, s0, v0
	v_mov_b32_e32 v5, s0
	v_cmp_gt_i32_e32 vcc, s24, v4
	v_mul_f32_e32 v2, 0x4f7ffffe, v2
	v_cvt_u32_f32_e32 v2, v2
	v_max_i32_e32 v6, s24, v4
	v_mul_lo_u32 v3, s1, v2
	v_addc_co_u32_e64 v0, s[0:1], v0, v5, vcc
	v_sub_u32_e32 v4, v6, v0
	v_mul_hi_u32 v3, v2, v3
	s_load_dword s0, s[4:5], 0x8
	s_load_dwordx2 s[6:7], s[4:5], 0x10
	s_load_dword s26, s[4:5], 0x18
	s_load_dwordx4 s[8:11], s[4:5], 0x20
	s_waitcnt lgkmcnt(0)
	v_cvt_f32_ubyte0_e32 v6, s0
	v_add_u32_e32 v0, v2, v3
	v_mul_hi_u32 v2, v4, v0
	v_cvt_f32_ubyte1_e32 v0, s0
	v_mul_lo_u32 v3, v2, s25
	v_add_u32_e32 v5, 1, v2
	v_sub_u32_e32 v3, v4, v3
	v_cmp_le_u32_e64 s[0:1], s25, v3
	v_subrev_u32_e32 v4, s25, v3
	v_cndmask_b32_e64 v2, v2, v5, s[0:1]
	v_cndmask_b32_e64 v3, v3, v4, s[0:1]
	v_add_u32_e32 v4, 1, v2
	v_cmp_le_u32_e64 s[0:1], s25, v3
	v_cndmask_b32_e64 v2, v2, v4, s[0:1]
	v_addc_co_u32_e32 v7, vcc, 1, v2, vcc
	v_cmp_lt_u32_e32 vcc, 3, v7
	s_mov_b64 s[0:1], -1
	s_and_saveexec_b64 s[12:13], vcc
	s_cbranch_execz .LBB0_5
; %bb.2:
	v_add_u32_e32 v2, s25, v1
	v_mad_u64_u32 v[4:5], s[0:1], s25, 3, v[1:2]
	v_lshl_add_u32 v3, s25, 1, v1
	v_and_b32_e32 v8, -4, v7
	s_lshl_b32 s34, s25, 2
	v_mov_b32_e32 v5, v4
	s_mov_b32 s14, s8
	s_mov_b32 s15, s9
	;; [unrolled: 1-line block ×17, first 2 shown]
	s_mov_b64 s[22:23], 0
	v_mov_b32_e32 v9, s7
	v_mov_b32_e32 v10, s7
	;; [unrolled: 1-line block ×9, first 2 shown]
.LBB0_3:                                ; =>This Inner Loop Header: Depth=1
	v_ashrrev_i32_e32 v16, 31, v2
	v_mov_b32_e32 v15, v2
	v_add_co_u32_e32 v17, vcc, s10, v2
	v_cmp_gt_i64_e64 s[0:1], s[14:15], v[15:16]
	v_addc_co_u32_e32 v18, vcc, v13, v16, vcc
	v_ashrrev_i32_e32 v16, 31, v3
	v_mov_b32_e32 v15, v3
	v_cmp_gt_i64_e64 s[2:3], s[16:17], v[15:16]
	v_add_co_u32_e32 v15, vcc, s10, v3
	v_addc_co_u32_e32 v16, vcc, v13, v16, vcc
	v_ashrrev_i32_e32 v20, 31, v4
	v_mov_b32_e32 v19, v4
	v_cmp_gt_i64_e32 vcc, s[18:19], v[19:20]
	v_add_co_u32_e64 v19, s[4:5], s10, v4
	v_addc_co_u32_e64 v20, s[4:5], v13, v20, s[4:5]
	v_not_b32_e32 v21, v2
	v_ashrrev_i32_e32 v22, 31, v21
	v_add_co_u32_e64 v21, s[4:5], s6, v21
	v_addc_co_u32_e64 v22, s[4:5], v12, v22, s[4:5]
	v_xor_b32_e32 v23, v21, v22
	v_ashrrev_i32_e32 v23, 31, v23
	v_ffbh_i32_e32 v24, v22
	v_add_u32_e32 v24, -1, v24
	v_add_u32_e32 v23, 32, v23
	v_min_u32_e32 v23, v24, v23
	v_lshlrev_b64 v[21:22], v23, v[21:22]
	v_add_u32_e32 v14, -4, v14
	v_min_u32_e32 v21, 1, v21
	v_or_b32_e32 v24, v22, v21
	v_not_b32_e32 v21, v3
	v_ashrrev_i32_e32 v22, 31, v21
	v_add_co_u32_e64 v21, s[4:5], s27, v21
	v_addc_co_u32_e64 v22, s[4:5], v11, v22, s[4:5]
	v_xor_b32_e32 v25, v21, v22
	v_ashrrev_i32_e32 v25, 31, v25
	v_ffbh_i32_e32 v26, v22
	v_add_u32_e32 v26, -1, v26
	v_add_u32_e32 v25, 32, v25
	v_min_u32_e32 v25, v26, v25
	v_lshlrev_b64 v[21:22], v25, v[21:22]
	v_min_u32_e32 v21, 1, v21
	v_or_b32_e32 v21, v22, v21
	v_sub_u32_e32 v22, 32, v23
	v_cvt_f32_i32_e32 v23, v24
	v_cvt_f32_i32_e32 v21, v21
	v_ldexp_f32 v22, v23, v22
	v_sub_u32_e32 v23, 32, v25
	v_ldexp_f32 v21, v21, v23
	v_cvt_f32_i32_e32 v23, v2
	v_fma_f32 v22, -s26, v22, v0
	v_fma_f32 v21, -s30, v21, v0
	v_add_u32_e32 v2, s34, v2
	v_fma_f32 v23, s26, v23, v6
	v_cndmask_b32_e64 v22, v22, v23, s[0:1]
	v_cvt_f32_i32_e32 v23, v3
	v_cvt_i32_f32_e32 v22, v22
	v_add_u32_e32 v3, s35, v3
	v_fma_f32 v23, s30, v23, v6
	v_cndmask_b32_e64 v21, v21, v23, s[2:3]
	v_cvt_i32_f32_sdwa v21, v21 dst_sel:BYTE_1 dst_unused:UNUSED_PAD src0_sel:DWORD
	v_or_b32_e32 v21, v22, v21
	v_and_b32_e32 v21, 0xffff, v21
	global_store_byte v[17:18], v21, off
	v_lshrrev_b32_e32 v17, 8, v21
	global_store_byte v[15:16], v17, off
	v_ashrrev_i32_e32 v16, 31, v5
	v_mov_b32_e32 v15, v5
	v_cmp_gt_i64_e64 s[0:1], s[20:21], v[15:16]
	v_add_co_u32_e64 v15, s[2:3], s10, v5
	v_addc_co_u32_e64 v16, s[2:3], v13, v16, s[2:3]
	v_not_b32_e32 v17, v4
	v_ashrrev_i32_e32 v18, 31, v17
	v_add_co_u32_e64 v17, s[2:3], s28, v17
	v_addc_co_u32_e64 v18, s[2:3], v10, v18, s[2:3]
	v_xor_b32_e32 v21, v17, v18
	v_ashrrev_i32_e32 v21, 31, v21
	v_ffbh_i32_e32 v22, v18
	v_add_u32_e32 v22, -1, v22
	v_add_u32_e32 v21, 32, v21
	v_min_u32_e32 v21, v22, v21
	v_lshlrev_b64 v[17:18], v21, v[17:18]
	v_min_u32_e32 v17, 1, v17
	v_or_b32_e32 v22, v18, v17
	v_not_b32_e32 v17, v5
	v_ashrrev_i32_e32 v18, 31, v17
	v_add_co_u32_e64 v17, s[2:3], s29, v17
	v_addc_co_u32_e64 v18, s[2:3], v9, v18, s[2:3]
	v_xor_b32_e32 v23, v17, v18
	v_ashrrev_i32_e32 v23, 31, v23
	v_ffbh_i32_e32 v24, v18
	v_add_u32_e32 v24, -1, v24
	v_add_u32_e32 v23, 32, v23
	v_min_u32_e32 v23, v24, v23
	v_lshlrev_b64 v[17:18], v23, v[17:18]
	v_min_u32_e32 v17, 1, v17
	v_or_b32_e32 v17, v18, v17
	v_sub_u32_e32 v18, 32, v21
	v_cvt_f32_i32_e32 v21, v22
	v_cvt_f32_i32_e32 v17, v17
	v_ldexp_f32 v18, v21, v18
	v_sub_u32_e32 v21, 32, v23
	v_ldexp_f32 v17, v17, v21
	v_cvt_f32_i32_e32 v21, v4
	v_fma_f32 v18, -s31, v18, v0
	v_fma_f32 v17, -s33, v17, v0
	v_add_u32_e32 v4, s36, v4
	v_fma_f32 v21, s31, v21, v6
	v_cndmask_b32_e32 v18, v18, v21, vcc
	v_cvt_f32_i32_e32 v21, v5
	v_cvt_i32_f32_e32 v18, v18
	v_cmp_eq_u32_e32 vcc, 0, v14
	v_add_u32_e32 v5, s37, v5
	v_fma_f32 v21, s33, v21, v6
	v_cndmask_b32_e64 v17, v17, v21, s[0:1]
	v_cvt_i32_f32_sdwa v17, v17 dst_sel:BYTE_1 dst_unused:UNUSED_PAD src0_sel:DWORD
	s_or_b64 s[22:23], vcc, s[22:23]
	v_or_b32_e32 v17, v18, v17
	global_store_byte v[19:20], v17, off
	v_lshrrev_b32_e32 v17, 8, v17
	global_store_byte v[15:16], v17, off
	s_andn2_b64 exec, exec, s[22:23]
	s_cbranch_execnz .LBB0_3
; %bb.4:
	s_or_b64 exec, exec, s[22:23]
	v_mad_u64_u32 v[1:2], s[0:1], v8, s25, v[1:2]
	v_cmp_ne_u32_e32 vcc, v7, v8
	s_orn2_b64 s[0:1], vcc, exec
.LBB0_5:
	s_or_b64 exec, exec, s[12:13]
	s_and_b64 exec, exec, s[0:1]
	s_cbranch_execz .LBB0_12
; %bb.6:
	v_ashrrev_i32_e32 v2, 31, v1
	v_not_b32_e32 v3, v1
	v_not_b32_e32 v4, v2
	v_mov_b32_e32 v5, s7
	v_add_co_u32_e32 v3, vcc, s6, v3
	s_ashr_i32 s2, s25, 31
	v_addc_co_u32_e32 v4, vcc, v4, v5, vcc
	s_mov_b64 s[0:1], 0
	v_mov_b32_e32 v5, s11
	v_mov_b32_e32 v7, s2
	s_branch .LBB0_8
.LBB0_7:                                ;   in Loop: Header=BB0_8 Depth=1
	s_or_b64 exec, exec, s[2:3]
	v_cvt_i32_f32_e32 v10, v8
	v_add_co_u32_e32 v8, vcc, s10, v1
	v_addc_co_u32_e32 v9, vcc, v5, v2, vcc
	v_add_co_u32_e32 v1, vcc, s25, v1
	v_addc_co_u32_e32 v2, vcc, v2, v7, vcc
	v_cmp_le_i32_e32 vcc, s24, v1
	s_or_b64 s[0:1], vcc, s[0:1]
	v_subrev_co_u32_e32 v3, vcc, s25, v3
	v_subb_co_u32_e32 v4, vcc, v4, v7, vcc
	global_store_byte v[8:9], v10, off
	s_andn2_b64 exec, exec, s[0:1]
	s_cbranch_execz .LBB0_12
.LBB0_8:                                ; =>This Inner Loop Header: Depth=1
	v_cmp_le_i64_e32 vcc, s[8:9], v[1:2]
                                        ; implicit-def: $vgpr8
	s_and_saveexec_b64 s[2:3], vcc
	s_xor_b64 s[2:3], exec, s[2:3]
	s_cbranch_execz .LBB0_10
; %bb.9:                                ;   in Loop: Header=BB0_8 Depth=1
	v_xor_b32_e32 v9, v3, v4
	v_ffbh_i32_e32 v8, v4
	v_ashrrev_i32_e32 v9, 31, v9
	v_add_u32_e32 v8, -1, v8
	v_add_u32_e32 v9, 32, v9
	v_min_u32_e32 v10, v8, v9
	v_lshlrev_b64 v[8:9], v10, v[3:4]
	v_min_u32_e32 v8, 1, v8
	v_or_b32_e32 v8, v9, v8
	v_cvt_f32_i32_e32 v8, v8
	v_sub_u32_e32 v9, 32, v10
	v_ldexp_f32 v8, v8, v9
	v_fma_f32 v8, -s26, v8, v0
.LBB0_10:                               ;   in Loop: Header=BB0_8 Depth=1
	s_andn2_saveexec_b64 s[2:3], s[2:3]
	s_cbranch_execz .LBB0_7
; %bb.11:                               ;   in Loop: Header=BB0_8 Depth=1
	v_cvt_f32_i32_e32 v8, v1
	v_fma_f32 v8, s26, v8, v6
	s_branch .LBB0_7
.LBB0_12:
	s_endpgm
	.section	.rodata,"a",@progbits
	.p2align	6, 0x0
	.amdhsa_kernel _ZN12_GLOBAL__N_141elementwise_kernel_with_index_grid_strideIiZZZN2at6native17linspace_cuda_outERKN3c106ScalarES6_lRNS1_6TensorEENKUlvE_clEvENKUlvE_clEvEUllE_EEvT_T0_PN15function_traitsISD_E11result_typeE
		.amdhsa_group_segment_fixed_size 0
		.amdhsa_private_segment_fixed_size 0
		.amdhsa_kernarg_size 304
		.amdhsa_user_sgpr_count 6
		.amdhsa_user_sgpr_private_segment_buffer 1
		.amdhsa_user_sgpr_dispatch_ptr 0
		.amdhsa_user_sgpr_queue_ptr 0
		.amdhsa_user_sgpr_kernarg_segment_ptr 1
		.amdhsa_user_sgpr_dispatch_id 0
		.amdhsa_user_sgpr_flat_scratch_init 0
		.amdhsa_user_sgpr_private_segment_size 0
		.amdhsa_uses_dynamic_stack 0
		.amdhsa_system_sgpr_private_segment_wavefront_offset 0
		.amdhsa_system_sgpr_workgroup_id_x 1
		.amdhsa_system_sgpr_workgroup_id_y 0
		.amdhsa_system_sgpr_workgroup_id_z 0
		.amdhsa_system_sgpr_workgroup_info 0
		.amdhsa_system_vgpr_workitem_id 0
		.amdhsa_next_free_vgpr 27
		.amdhsa_next_free_sgpr 38
		.amdhsa_reserve_vcc 1
		.amdhsa_reserve_flat_scratch 0
		.amdhsa_float_round_mode_32 0
		.amdhsa_float_round_mode_16_64 0
		.amdhsa_float_denorm_mode_32 3
		.amdhsa_float_denorm_mode_16_64 3
		.amdhsa_dx10_clamp 1
		.amdhsa_ieee_mode 1
		.amdhsa_fp16_overflow 0
		.amdhsa_exception_fp_ieee_invalid_op 0
		.amdhsa_exception_fp_denorm_src 0
		.amdhsa_exception_fp_ieee_div_zero 0
		.amdhsa_exception_fp_ieee_overflow 0
		.amdhsa_exception_fp_ieee_underflow 0
		.amdhsa_exception_fp_ieee_inexact 0
		.amdhsa_exception_int_div_zero 0
	.end_amdhsa_kernel
	.section	.text._ZN12_GLOBAL__N_141elementwise_kernel_with_index_grid_strideIiZZZN2at6native17linspace_cuda_outERKN3c106ScalarES6_lRNS1_6TensorEENKUlvE_clEvENKUlvE_clEvEUllE_EEvT_T0_PN15function_traitsISD_E11result_typeE,"axG",@progbits,_ZN12_GLOBAL__N_141elementwise_kernel_with_index_grid_strideIiZZZN2at6native17linspace_cuda_outERKN3c106ScalarES6_lRNS1_6TensorEENKUlvE_clEvENKUlvE_clEvEUllE_EEvT_T0_PN15function_traitsISD_E11result_typeE,comdat
.Lfunc_end0:
	.size	_ZN12_GLOBAL__N_141elementwise_kernel_with_index_grid_strideIiZZZN2at6native17linspace_cuda_outERKN3c106ScalarES6_lRNS1_6TensorEENKUlvE_clEvENKUlvE_clEvEUllE_EEvT_T0_PN15function_traitsISD_E11result_typeE, .Lfunc_end0-_ZN12_GLOBAL__N_141elementwise_kernel_with_index_grid_strideIiZZZN2at6native17linspace_cuda_outERKN3c106ScalarES6_lRNS1_6TensorEENKUlvE_clEvENKUlvE_clEvEUllE_EEvT_T0_PN15function_traitsISD_E11result_typeE
                                        ; -- End function
	.set _ZN12_GLOBAL__N_141elementwise_kernel_with_index_grid_strideIiZZZN2at6native17linspace_cuda_outERKN3c106ScalarES6_lRNS1_6TensorEENKUlvE_clEvENKUlvE_clEvEUllE_EEvT_T0_PN15function_traitsISD_E11result_typeE.num_vgpr, 27
	.set _ZN12_GLOBAL__N_141elementwise_kernel_with_index_grid_strideIiZZZN2at6native17linspace_cuda_outERKN3c106ScalarES6_lRNS1_6TensorEENKUlvE_clEvENKUlvE_clEvEUllE_EEvT_T0_PN15function_traitsISD_E11result_typeE.num_agpr, 0
	.set _ZN12_GLOBAL__N_141elementwise_kernel_with_index_grid_strideIiZZZN2at6native17linspace_cuda_outERKN3c106ScalarES6_lRNS1_6TensorEENKUlvE_clEvENKUlvE_clEvEUllE_EEvT_T0_PN15function_traitsISD_E11result_typeE.numbered_sgpr, 38
	.set _ZN12_GLOBAL__N_141elementwise_kernel_with_index_grid_strideIiZZZN2at6native17linspace_cuda_outERKN3c106ScalarES6_lRNS1_6TensorEENKUlvE_clEvENKUlvE_clEvEUllE_EEvT_T0_PN15function_traitsISD_E11result_typeE.num_named_barrier, 0
	.set _ZN12_GLOBAL__N_141elementwise_kernel_with_index_grid_strideIiZZZN2at6native17linspace_cuda_outERKN3c106ScalarES6_lRNS1_6TensorEENKUlvE_clEvENKUlvE_clEvEUllE_EEvT_T0_PN15function_traitsISD_E11result_typeE.private_seg_size, 0
	.set _ZN12_GLOBAL__N_141elementwise_kernel_with_index_grid_strideIiZZZN2at6native17linspace_cuda_outERKN3c106ScalarES6_lRNS1_6TensorEENKUlvE_clEvENKUlvE_clEvEUllE_EEvT_T0_PN15function_traitsISD_E11result_typeE.uses_vcc, 1
	.set _ZN12_GLOBAL__N_141elementwise_kernel_with_index_grid_strideIiZZZN2at6native17linspace_cuda_outERKN3c106ScalarES6_lRNS1_6TensorEENKUlvE_clEvENKUlvE_clEvEUllE_EEvT_T0_PN15function_traitsISD_E11result_typeE.uses_flat_scratch, 0
	.set _ZN12_GLOBAL__N_141elementwise_kernel_with_index_grid_strideIiZZZN2at6native17linspace_cuda_outERKN3c106ScalarES6_lRNS1_6TensorEENKUlvE_clEvENKUlvE_clEvEUllE_EEvT_T0_PN15function_traitsISD_E11result_typeE.has_dyn_sized_stack, 0
	.set _ZN12_GLOBAL__N_141elementwise_kernel_with_index_grid_strideIiZZZN2at6native17linspace_cuda_outERKN3c106ScalarES6_lRNS1_6TensorEENKUlvE_clEvENKUlvE_clEvEUllE_EEvT_T0_PN15function_traitsISD_E11result_typeE.has_recursion, 0
	.set _ZN12_GLOBAL__N_141elementwise_kernel_with_index_grid_strideIiZZZN2at6native17linspace_cuda_outERKN3c106ScalarES6_lRNS1_6TensorEENKUlvE_clEvENKUlvE_clEvEUllE_EEvT_T0_PN15function_traitsISD_E11result_typeE.has_indirect_call, 0
	.section	.AMDGPU.csdata,"",@progbits
; Kernel info:
; codeLenInByte = 1320
; TotalNumSgprs: 42
; NumVgprs: 27
; ScratchSize: 0
; MemoryBound: 0
; FloatMode: 240
; IeeeMode: 1
; LDSByteSize: 0 bytes/workgroup (compile time only)
; SGPRBlocks: 5
; VGPRBlocks: 6
; NumSGPRsForWavesPerEU: 42
; NumVGPRsForWavesPerEU: 27
; Occupancy: 9
; WaveLimiterHint : 0
; COMPUTE_PGM_RSRC2:SCRATCH_EN: 0
; COMPUTE_PGM_RSRC2:USER_SGPR: 6
; COMPUTE_PGM_RSRC2:TRAP_HANDLER: 0
; COMPUTE_PGM_RSRC2:TGID_X_EN: 1
; COMPUTE_PGM_RSRC2:TGID_Y_EN: 0
; COMPUTE_PGM_RSRC2:TGID_Z_EN: 0
; COMPUTE_PGM_RSRC2:TIDIG_COMP_CNT: 0
	.section	.text._ZN12_GLOBAL__N_141elementwise_kernel_with_index_grid_strideIlZZZN2at6native17linspace_cuda_outERKN3c106ScalarES6_lRNS1_6TensorEENKUlvE_clEvENKUlvE_clEvEUllE_EEvT_T0_PN15function_traitsISD_E11result_typeE,"axG",@progbits,_ZN12_GLOBAL__N_141elementwise_kernel_with_index_grid_strideIlZZZN2at6native17linspace_cuda_outERKN3c106ScalarES6_lRNS1_6TensorEENKUlvE_clEvENKUlvE_clEvEUllE_EEvT_T0_PN15function_traitsISD_E11result_typeE,comdat
	.globl	_ZN12_GLOBAL__N_141elementwise_kernel_with_index_grid_strideIlZZZN2at6native17linspace_cuda_outERKN3c106ScalarES6_lRNS1_6TensorEENKUlvE_clEvENKUlvE_clEvEUllE_EEvT_T0_PN15function_traitsISD_E11result_typeE ; -- Begin function _ZN12_GLOBAL__N_141elementwise_kernel_with_index_grid_strideIlZZZN2at6native17linspace_cuda_outERKN3c106ScalarES6_lRNS1_6TensorEENKUlvE_clEvENKUlvE_clEvEUllE_EEvT_T0_PN15function_traitsISD_E11result_typeE
	.p2align	8
	.type	_ZN12_GLOBAL__N_141elementwise_kernel_with_index_grid_strideIlZZZN2at6native17linspace_cuda_outERKN3c106ScalarES6_lRNS1_6TensorEENKUlvE_clEvENKUlvE_clEvEUllE_EEvT_T0_PN15function_traitsISD_E11result_typeE,@function
_ZN12_GLOBAL__N_141elementwise_kernel_with_index_grid_strideIlZZZN2at6native17linspace_cuda_outERKN3c106ScalarES6_lRNS1_6TensorEENKUlvE_clEvENKUlvE_clEvEUllE_EEvT_T0_PN15function_traitsISD_E11result_typeE: ; @_ZN12_GLOBAL__N_141elementwise_kernel_with_index_grid_strideIlZZZN2at6native17linspace_cuda_outERKN3c106ScalarES6_lRNS1_6TensorEENKUlvE_clEvENKUlvE_clEvEUllE_EEvT_T0_PN15function_traitsISD_E11result_typeE
; %bb.0:
	s_load_dword s2, s[4:5], 0x3c
	s_load_dwordx2 s[8:9], s[4:5], 0x0
	s_add_u32 s0, s4, 48
	s_addc_u32 s1, s5, 0
	v_mov_b32_e32 v3, 0
	s_waitcnt lgkmcnt(0)
	s_and_b32 s7, s2, 0xffff
	s_mul_hi_u32 s26, s7, s6
	s_mul_i32 s27, s7, s6
	v_mov_b32_e32 v2, s26
	v_add_co_u32_e32 v1, vcc, s27, v0
	v_addc_co_u32_e32 v2, vcc, 0, v2, vcc
	v_cmp_gt_i64_e32 vcc, s[8:9], v[1:2]
	s_and_saveexec_b64 s[2:3], vcc
	s_cbranch_execz .LBB1_16
; %bb.1:
	s_load_dword s24, s[0:1], 0x0
	v_mov_b32_e32 v5, s8
	s_load_dword s16, s[4:5], 0x8
	s_mov_b32 s25, 0
	s_waitcnt lgkmcnt(0)
	s_add_u32 s0, s6, s24
	s_addc_u32 s1, 0, 0
	s_mul_hi_u32 s2, s0, s7
	s_mul_i32 s1, s1, s7
	s_add_i32 s28, s2, s1
	s_mul_i32 s29, s0, s7
	v_mov_b32_e32 v4, s28
	v_add_co_u32_e32 v6, vcc, s29, v0
	v_addc_co_u32_e32 v7, vcc, 0, v4, vcc
	v_cmp_gt_i64_e32 vcc, s[8:9], v[6:7]
	v_mov_b32_e32 v4, s9
	v_cndmask_b32_e32 v8, v6, v5, vcc
	v_cndmask_b32_e64 v5, 0, 1, vcc
	v_cndmask_b32_e32 v4, v7, v4, vcc
	v_add_co_u32_e32 v6, vcc, v6, v5
	v_addc_co_u32_e32 v7, vcc, 0, v7, vcc
	v_sub_co_u32_e32 v6, vcc, v8, v6
	s_mul_hi_u32 s11, s7, s24
	v_subb_co_u32_e32 v7, vcc, v4, v7, vcc
	v_or_b32_e32 v4, s11, v7
	v_cmp_ne_u64_e32 vcc, 0, v[3:4]
	s_mul_i32 s10, s7, s24
                                        ; implicit-def: $vgpr3_vgpr4
	s_and_saveexec_b64 s[0:1], vcc
	s_xor_b64 s[2:3], exec, s[0:1]
	s_cbranch_execz .LBB1_3
; %bb.2:
	v_cvt_f32_u32_e32 v3, s10
	v_cvt_f32_u32_e32 v4, s11
	s_sub_u32 s12, 0, s10
	s_subb_u32 s13, 0, s11
	v_madmk_f32 v3, v4, 0x4f800000, v3
	v_rcp_f32_e32 v3, v3
	v_mul_f32_e32 v3, 0x5f7ffffc, v3
	v_mul_f32_e32 v4, 0x2f800000, v3
	v_trunc_f32_e32 v4, v4
	v_madmk_f32 v3, v4, 0xcf800000, v3
	v_cvt_u32_f32_e32 v4, v4
	v_cvt_u32_f32_e32 v3, v3
	v_readfirstlane_b32 s14, v4
	v_readfirstlane_b32 s0, v3
	s_mul_i32 s1, s12, s14
	s_mul_hi_u32 s17, s12, s0
	s_mul_i32 s15, s13, s0
	s_add_i32 s1, s17, s1
	s_mul_i32 s18, s12, s0
	s_add_i32 s1, s1, s15
	s_mul_i32 s17, s0, s1
	s_mul_hi_u32 s19, s0, s18
	s_mul_hi_u32 s15, s0, s1
	s_add_u32 s17, s19, s17
	s_addc_u32 s15, 0, s15
	s_mul_hi_u32 s20, s14, s18
	s_mul_i32 s18, s14, s18
	s_add_u32 s17, s17, s18
	s_mul_hi_u32 s19, s14, s1
	s_addc_u32 s15, s15, s20
	s_addc_u32 s17, s19, 0
	s_mul_i32 s1, s14, s1
	s_add_u32 s1, s15, s1
	s_addc_u32 s15, 0, s17
	s_add_u32 s17, s0, s1
	s_cselect_b64 s[0:1], -1, 0
	s_cmp_lg_u64 s[0:1], 0
	s_addc_u32 s14, s14, s15
	s_mul_i32 s0, s12, s14
	s_mul_hi_u32 s1, s12, s17
	s_add_i32 s0, s1, s0
	s_mul_i32 s13, s13, s17
	s_add_i32 s0, s0, s13
	s_mul_i32 s12, s12, s17
	s_mul_hi_u32 s13, s14, s12
	s_mul_i32 s15, s14, s12
	s_mul_i32 s19, s17, s0
	s_mul_hi_u32 s12, s17, s12
	s_mul_hi_u32 s18, s17, s0
	s_add_u32 s12, s12, s19
	s_addc_u32 s18, 0, s18
	s_add_u32 s12, s12, s15
	s_mul_hi_u32 s1, s14, s0
	s_addc_u32 s12, s18, s13
	s_addc_u32 s1, s1, 0
	s_mul_i32 s0, s14, s0
	s_add_u32 s0, s12, s0
	s_addc_u32 s12, 0, s1
	s_add_u32 s13, s17, s0
	s_cselect_b64 s[0:1], -1, 0
	s_cmp_lg_u64 s[0:1], 0
	s_addc_u32 s12, s14, s12
	v_mad_u64_u32 v[3:4], s[0:1], v6, s12, 0
	v_mul_hi_u32 v8, v6, s13
	v_add_co_u32_e32 v10, vcc, v8, v3
	v_addc_co_u32_e32 v11, vcc, 0, v4, vcc
	v_mad_u64_u32 v[3:4], s[0:1], v7, s13, 0
	v_mad_u64_u32 v[8:9], s[0:1], v7, s12, 0
	v_add_co_u32_e32 v3, vcc, v10, v3
	v_addc_co_u32_e32 v3, vcc, v11, v4, vcc
	v_addc_co_u32_e32 v4, vcc, 0, v9, vcc
	v_add_co_u32_e32 v8, vcc, v3, v8
	v_addc_co_u32_e32 v9, vcc, 0, v4, vcc
	v_mul_lo_u32 v10, s11, v8
	v_mul_lo_u32 v11, s10, v9
	v_mad_u64_u32 v[3:4], s[0:1], s10, v8, 0
	v_add3_u32 v4, v4, v11, v10
	v_sub_u32_e32 v10, v7, v4
	v_mov_b32_e32 v11, s11
	v_sub_co_u32_e32 v3, vcc, v6, v3
	v_subb_co_u32_e64 v6, s[0:1], v10, v11, vcc
	v_subrev_co_u32_e64 v10, s[0:1], s10, v3
	v_subbrev_co_u32_e64 v6, s[0:1], 0, v6, s[0:1]
	v_cmp_le_u32_e64 s[0:1], s11, v6
	v_cndmask_b32_e64 v11, 0, -1, s[0:1]
	v_cmp_le_u32_e64 s[0:1], s10, v10
	v_cndmask_b32_e64 v10, 0, -1, s[0:1]
	v_cmp_eq_u32_e64 s[0:1], s11, v6
	v_cndmask_b32_e64 v6, v11, v10, s[0:1]
	v_add_co_u32_e64 v10, s[0:1], 2, v8
	v_subb_co_u32_e32 v4, vcc, v7, v4, vcc
	v_addc_co_u32_e64 v11, s[0:1], 0, v9, s[0:1]
	v_cmp_le_u32_e32 vcc, s11, v4
	v_add_co_u32_e64 v12, s[0:1], 1, v8
	v_cndmask_b32_e64 v7, 0, -1, vcc
	v_cmp_le_u32_e32 vcc, s10, v3
	v_addc_co_u32_e64 v13, s[0:1], 0, v9, s[0:1]
	v_cndmask_b32_e64 v3, 0, -1, vcc
	v_cmp_eq_u32_e32 vcc, s11, v4
	v_cmp_ne_u32_e64 s[0:1], 0, v6
	v_cndmask_b32_e32 v3, v7, v3, vcc
	v_cndmask_b32_e64 v6, v13, v11, s[0:1]
	v_cmp_ne_u32_e32 vcc, 0, v3
	v_cndmask_b32_e64 v3, v12, v10, s[0:1]
	v_cndmask_b32_e32 v4, v9, v6, vcc
	v_cndmask_b32_e32 v3, v8, v3, vcc
                                        ; implicit-def: $vgpr6
.LBB1_3:
	s_or_saveexec_b64 s[14:15], s[2:3]
	s_load_dwordx2 s[12:13], s[4:5], 0x10
	s_load_dwordx4 s[0:3], s[4:5], 0x20
	s_bfe_u32 s17, s16, 0x80008
	s_xor_b64 exec, exec, s[14:15]
	s_cbranch_execz .LBB1_5
; %bb.4:
	v_cvt_f32_u32_e32 v3, s10
	s_sub_i32 s18, 0, s10
	v_rcp_iflag_f32_e32 v3, v3
	v_mul_f32_e32 v3, 0x4f7ffffe, v3
	v_cvt_u32_f32_e32 v3, v3
	v_mul_lo_u32 v4, s18, v3
	v_mul_hi_u32 v4, v3, v4
	v_add_u32_e32 v3, v3, v4
	v_mul_hi_u32 v3, v6, v3
	v_mul_lo_u32 v4, v3, s10
	v_add_u32_e32 v7, 1, v3
	v_sub_u32_e32 v4, v6, v4
	v_subrev_u32_e32 v6, s10, v4
	v_cmp_le_u32_e32 vcc, s10, v4
	v_cndmask_b32_e32 v4, v4, v6, vcc
	v_cndmask_b32_e32 v3, v3, v7, vcc
	v_add_u32_e32 v6, 1, v3
	v_cmp_le_u32_e32 vcc, s10, v4
	v_cndmask_b32_e32 v3, v3, v6, vcc
	v_mov_b32_e32 v4, 0
.LBB1_5:
	s_or_b64 exec, exec, s[14:15]
	v_add_co_u32_e32 v3, vcc, v3, v5
	s_load_dword s30, s[4:5], 0x18
	v_addc_co_u32_e32 v4, vcc, 0, v4, vcc
	v_add_co_u32_e32 v11, vcc, 1, v3
	v_addc_co_u32_e32 v12, vcc, 0, v4, vcc
	v_cmp_lt_u64_e32 vcc, 3, v[11:12]
	v_cvt_f32_ubyte0_e32 v17, s17
	v_cvt_f32_ubyte0_e32 v18, s16
	s_mov_b64 s[14:15], -1
	s_and_saveexec_b64 s[4:5], vcc
	s_cbranch_execz .LBB1_9
; %bb.6:
	v_mad_u64_u32 v[7:8], s[22:23], s10, 3, v[1:2]
	v_mad_u64_u32 v[5:6], s[22:23], s10, 2, v[1:2]
	;; [unrolled: 1-line block ×4, first 2 shown]
	s_lshl_b64 s[22:23], s[10:11], 2
	s_mul_i32 s48, s24, 3
	s_mul_hi_u32 s47, s24, 3
	s_add_u32 s48, s48, s6
	s_addc_u32 s47, s47, 0
	s_mul_i32 s47, s47, s7
	s_mul_hi_u32 s49, s48, s7
	s_add_i32 s47, s49, s47
	s_lshl_b64 s[24:25], s[24:25], 1
	s_add_u32 s6, s24, s6
	v_mov_b32_e32 v14, v12
	v_lshl_add_u32 v6, s11, 1, v6
	v_add_u32_e32 v4, s11, v4
	s_waitcnt lgkmcnt(0)
	v_mov_b32_e32 v9, s3
	v_add_co_u32_e32 v0, vcc, s2, v0
	s_addc_u32 s24, s25, 0
	v_and_b32_e32 v13, -4, v11
	v_addc_co_u32_e32 v19, vcc, 0, v9, vcc
	s_mul_i32 s24, s24, s7
	s_mul_hi_u32 s25, s6, s7
	v_mov_b32_e32 v16, v14
	v_mov_b32_e32 v10, v8
	s_mov_b32 s14, s0
	s_mov_b32 s15, s1
	;; [unrolled: 1-line block ×23, first 2 shown]
	s_mul_i32 s48, s48, s7
	s_add_i32 s24, s25, s24
	s_mul_i32 s25, s6, s7
	s_mov_b64 s[6:7], 0
	v_mov_b32_e32 v15, v13
	v_mov_b32_e32 v9, v7
	;; [unrolled: 1-line block ×8, first 2 shown]
.LBB1_7:                                ; =>This Inner Loop Header: Depth=1
	v_not_b32_e32 v20, v5
	v_not_b32_e32 v21, v6
	v_mov_b32_e32 v22, s33
	v_add_co_u32_e32 v20, vcc, s31, v20
	v_addc_co_u32_e32 v21, vcc, v22, v21, vcc
	v_not_b32_e32 v22, v3
	v_not_b32_e32 v23, v4
	v_mov_b32_e32 v24, s13
	v_add_co_u32_e32 v22, vcc, s12, v22
	v_addc_co_u32_e32 v23, vcc, v24, v23, vcc
	v_ffbh_u32_e32 v24, v4
	v_min_u32_e32 v26, 32, v24
	v_lshlrev_b64 v[24:25], v26, v[3:4]
	v_ffbh_i32_e32 v29, v23
	v_min_u32_e32 v24, 1, v24
	v_or_b32_e32 v27, v25, v24
	v_ffbh_u32_e32 v24, v6
	v_min_u32_e32 v28, 32, v24
	v_lshlrev_b64 v[24:25], v28, v[5:6]
	v_add_u32_e32 v29, -1, v29
	v_min_u32_e32 v24, 1, v24
	v_or_b32_e32 v24, v25, v24
	v_xor_b32_e32 v25, v22, v23
	v_ashrrev_i32_e32 v25, 31, v25
	v_add_u32_e32 v25, 32, v25
	v_min_u32_e32 v25, v29, v25
	v_lshlrev_b64 v[22:23], v25, v[22:23]
	v_ffbh_i32_e32 v29, v21
	v_min_u32_e32 v22, 1, v22
	v_or_b32_e32 v22, v23, v22
	v_xor_b32_e32 v23, v20, v21
	v_ashrrev_i32_e32 v23, 31, v23
	v_add_u32_e32 v29, -1, v29
	v_add_u32_e32 v23, 32, v23
	v_min_u32_e32 v23, v29, v23
	v_lshlrev_b64 v[20:21], v23, v[20:21]
	v_cvt_f32_i32_e32 v22, v22
	v_min_u32_e32 v20, 1, v20
	v_or_b32_e32 v29, v21, v20
	v_cvt_f32_u32_e32 v27, v27
	v_sub_u32_e32 v25, 32, v25
	v_ldexp_f32 v22, v22, v25
	v_cvt_f32_i32_e32 v25, v29
	v_mov_b32_e32 v21, s26
	v_add_co_u32_e32 v20, vcc, s27, v0
	v_cvt_f32_u32_e32 v24, v24
	v_addc_co_u32_e32 v21, vcc, v19, v21, vcc
	v_sub_u32_e32 v26, 32, v26
	v_ldexp_f32 v26, v27, v26
	v_sub_u32_e32 v23, 32, v23
	v_cmp_gt_i64_e32 vcc, s[14:15], v[3:4]
	v_sub_u32_e32 v27, 32, v28
	v_ldexp_f32 v23, v25, v23
	v_fma_f32 v25, s30, v26, v18
	v_fma_f32 v22, -s30, v22, v17
	v_ldexp_f32 v24, v24, v27
	v_cndmask_b32_e32 v22, v22, v25, vcc
	v_cmp_gt_i64_e32 vcc, s[16:17], v[5:6]
	v_fma_f32 v24, s38, v24, v18
	v_fma_f32 v23, -s38, v23, v17
	v_cndmask_b32_e32 v23, v23, v24, vcc
	v_cvt_i32_f32_sdwa v23, v23 dst_sel:BYTE_1 dst_unused:UNUSED_PAD src0_sel:DWORD
	v_cvt_i32_f32_e32 v22, v22
	v_mov_b32_e32 v24, s35
	v_or_b32_e32 v22, v22, v23
	v_and_b32_e32 v22, 0xffff, v22
	global_store_byte v[20:21], v22, off
	v_add_co_u32_e32 v20, vcc, s29, v0
	v_mov_b32_e32 v21, s28
	v_addc_co_u32_e32 v21, vcc, v19, v21, vcc
	v_lshrrev_b32_e32 v22, 8, v22
	global_store_byte v[20:21], v22, off
	v_not_b32_e32 v20, v9
	v_not_b32_e32 v21, v10
	v_mov_b32_e32 v22, s37
	v_add_co_u32_e32 v20, vcc, s36, v20
	v_addc_co_u32_e32 v21, vcc, v22, v21, vcc
	v_not_b32_e32 v22, v7
	v_not_b32_e32 v23, v8
	v_add_co_u32_e32 v22, vcc, s34, v22
	v_addc_co_u32_e32 v23, vcc, v24, v23, vcc
	v_ffbh_u32_e32 v24, v8
	v_min_u32_e32 v26, 32, v24
	v_lshlrev_b64 v[24:25], v26, v[7:8]
	v_ffbh_i32_e32 v29, v23
	v_min_u32_e32 v24, 1, v24
	v_or_b32_e32 v27, v25, v24
	v_ffbh_u32_e32 v24, v10
	v_min_u32_e32 v28, 32, v24
	v_lshlrev_b64 v[24:25], v28, v[9:10]
	v_add_u32_e32 v29, -1, v29
	v_min_u32_e32 v24, 1, v24
	v_or_b32_e32 v24, v25, v24
	v_xor_b32_e32 v25, v22, v23
	v_ashrrev_i32_e32 v25, 31, v25
	v_add_u32_e32 v25, 32, v25
	v_min_u32_e32 v25, v29, v25
	v_lshlrev_b64 v[22:23], v25, v[22:23]
	v_ffbh_i32_e32 v29, v21
	v_min_u32_e32 v22, 1, v22
	v_or_b32_e32 v22, v23, v22
	v_xor_b32_e32 v23, v20, v21
	v_ashrrev_i32_e32 v23, 31, v23
	v_add_u32_e32 v29, -1, v29
	v_add_u32_e32 v23, 32, v23
	v_min_u32_e32 v23, v29, v23
	v_lshlrev_b64 v[20:21], v23, v[20:21]
	v_cvt_f32_i32_e32 v22, v22
	v_min_u32_e32 v20, 1, v20
	v_or_b32_e32 v29, v21, v20
	v_cvt_f32_u32_e32 v27, v27
	v_sub_u32_e32 v25, 32, v25
	v_ldexp_f32 v22, v22, v25
	v_cvt_f32_i32_e32 v25, v29
	v_mov_b32_e32 v21, s24
	v_add_co_u32_e32 v20, vcc, s25, v0
	v_cvt_f32_u32_e32 v24, v24
	v_addc_co_u32_e32 v21, vcc, v19, v21, vcc
	v_sub_u32_e32 v26, 32, v26
	v_ldexp_f32 v26, v27, v26
	v_sub_u32_e32 v23, 32, v23
	v_cmp_gt_i64_e32 vcc, s[18:19], v[7:8]
	v_sub_u32_e32 v27, 32, v28
	v_ldexp_f32 v23, v25, v23
	v_fma_f32 v25, s39, v26, v18
	v_fma_f32 v22, -s39, v22, v17
	v_ldexp_f32 v24, v24, v27
	v_cndmask_b32_e32 v22, v22, v25, vcc
	v_cmp_gt_i64_e32 vcc, s[20:21], v[9:10]
	v_fma_f32 v24, s40, v24, v18
	v_fma_f32 v23, -s40, v23, v17
	v_cndmask_b32_e32 v23, v23, v24, vcc
	v_cvt_i32_f32_sdwa v23, v23 dst_sel:BYTE_1 dst_unused:UNUSED_PAD src0_sel:DWORD
	v_cvt_i32_f32_e32 v22, v22
	v_or_b32_e32 v22, v22, v23
	global_store_byte v[20:21], v22, off
	v_add_co_u32_e32 v20, vcc, s48, v0
	v_mov_b32_e32 v21, s47
	v_addc_co_u32_e32 v21, vcc, v19, v21, vcc
	v_add_co_u32_e32 v0, vcc, s22, v0
	v_mov_b32_e32 v23, s23
	v_addc_co_u32_e32 v19, vcc, v19, v23, vcc
	;; [unrolled: 3-line block ×6, first 2 shown]
	v_add_co_u32_e32 v15, vcc, -4, v15
	v_addc_co_u32_e32 v16, vcc, -1, v16, vcc
	v_cmp_eq_u64_e32 vcc, 0, v[15:16]
	v_lshrrev_b32_e32 v22, 8, v22
	s_or_b64 s[6:7], vcc, s[6:7]
	global_store_byte v[20:21], v22, off
	s_andn2_b64 exec, exec, s[6:7]
	s_cbranch_execnz .LBB1_7
; %bb.8:
	s_or_b64 exec, exec, s[6:7]
	v_mad_u64_u32 v[1:2], s[6:7], v13, s10, v[1:2]
	v_mul_lo_u32 v0, v13, s11
	v_mul_lo_u32 v3, v14, s10
	v_cmp_ne_u64_e32 vcc, v[11:12], v[13:14]
	s_orn2_b64 s[14:15], vcc, exec
	v_add3_u32 v2, v3, v2, v0
.LBB1_9:
	s_or_b64 exec, exec, s[4:5]
	s_and_b64 exec, exec, s[14:15]
	s_cbranch_execz .LBB1_16
; %bb.10:
	v_not_b32_e32 v3, v1
	v_not_b32_e32 v0, v2
	s_waitcnt lgkmcnt(0)
	v_mov_b32_e32 v4, s13
	v_add_co_u32_e32 v3, vcc, s12, v3
	v_addc_co_u32_e32 v4, vcc, v0, v4, vcc
	s_mov_b64 s[4:5], 0
	v_mov_b32_e32 v0, s3
	v_mov_b32_e32 v5, s11
	s_branch .LBB1_12
.LBB1_11:                               ;   in Loop: Header=BB1_12 Depth=1
	s_or_b64 exec, exec, s[6:7]
	v_cvt_i32_f32_e32 v8, v6
	v_add_co_u32_e32 v6, vcc, s2, v1
	v_addc_co_u32_e32 v7, vcc, v0, v2, vcc
	v_add_co_u32_e32 v1, vcc, s10, v1
	v_addc_co_u32_e32 v2, vcc, v2, v5, vcc
	v_cmp_le_i64_e32 vcc, s[8:9], v[1:2]
	global_store_byte v[6:7], v8, off
	s_or_b64 s[4:5], vcc, s[4:5]
	v_subrev_co_u32_e32 v3, vcc, s10, v3
	v_subb_co_u32_e32 v4, vcc, v4, v5, vcc
	s_andn2_b64 exec, exec, s[4:5]
	s_cbranch_execz .LBB1_16
.LBB1_12:                               ; =>This Inner Loop Header: Depth=1
	v_cmp_le_i64_e32 vcc, s[0:1], v[1:2]
                                        ; implicit-def: $vgpr6
	s_and_saveexec_b64 s[6:7], vcc
	s_xor_b64 s[6:7], exec, s[6:7]
	s_cbranch_execz .LBB1_14
; %bb.13:                               ;   in Loop: Header=BB1_12 Depth=1
	v_xor_b32_e32 v7, v3, v4
	v_ffbh_i32_e32 v6, v4
	v_ashrrev_i32_e32 v7, 31, v7
	v_add_u32_e32 v6, -1, v6
	v_add_u32_e32 v7, 32, v7
	v_min_u32_e32 v8, v6, v7
	v_lshlrev_b64 v[6:7], v8, v[3:4]
	v_min_u32_e32 v6, 1, v6
	v_or_b32_e32 v6, v7, v6
	v_cvt_f32_i32_e32 v6, v6
	v_sub_u32_e32 v7, 32, v8
	v_ldexp_f32 v6, v6, v7
	v_fma_f32 v6, -s30, v6, v17
.LBB1_14:                               ;   in Loop: Header=BB1_12 Depth=1
	s_andn2_saveexec_b64 s[6:7], s[6:7]
	s_cbranch_execz .LBB1_11
; %bb.15:                               ;   in Loop: Header=BB1_12 Depth=1
	v_ffbh_u32_e32 v6, v2
	v_min_u32_e32 v8, 32, v6
	v_lshlrev_b64 v[6:7], v8, v[1:2]
	v_min_u32_e32 v6, 1, v6
	v_or_b32_e32 v6, v7, v6
	v_cvt_f32_u32_e32 v6, v6
	v_sub_u32_e32 v7, 32, v8
	v_ldexp_f32 v6, v6, v7
	v_fma_f32 v6, s30, v6, v18
	s_branch .LBB1_11
.LBB1_16:
	s_endpgm
	.section	.rodata,"a",@progbits
	.p2align	6, 0x0
	.amdhsa_kernel _ZN12_GLOBAL__N_141elementwise_kernel_with_index_grid_strideIlZZZN2at6native17linspace_cuda_outERKN3c106ScalarES6_lRNS1_6TensorEENKUlvE_clEvENKUlvE_clEvEUllE_EEvT_T0_PN15function_traitsISD_E11result_typeE
		.amdhsa_group_segment_fixed_size 0
		.amdhsa_private_segment_fixed_size 0
		.amdhsa_kernarg_size 304
		.amdhsa_user_sgpr_count 6
		.amdhsa_user_sgpr_private_segment_buffer 1
		.amdhsa_user_sgpr_dispatch_ptr 0
		.amdhsa_user_sgpr_queue_ptr 0
		.amdhsa_user_sgpr_kernarg_segment_ptr 1
		.amdhsa_user_sgpr_dispatch_id 0
		.amdhsa_user_sgpr_flat_scratch_init 0
		.amdhsa_user_sgpr_private_segment_size 0
		.amdhsa_uses_dynamic_stack 0
		.amdhsa_system_sgpr_private_segment_wavefront_offset 0
		.amdhsa_system_sgpr_workgroup_id_x 1
		.amdhsa_system_sgpr_workgroup_id_y 0
		.amdhsa_system_sgpr_workgroup_id_z 0
		.amdhsa_system_sgpr_workgroup_info 0
		.amdhsa_system_vgpr_workitem_id 0
		.amdhsa_next_free_vgpr 30
		.amdhsa_next_free_sgpr 50
		.amdhsa_reserve_vcc 1
		.amdhsa_reserve_flat_scratch 0
		.amdhsa_float_round_mode_32 0
		.amdhsa_float_round_mode_16_64 0
		.amdhsa_float_denorm_mode_32 3
		.amdhsa_float_denorm_mode_16_64 3
		.amdhsa_dx10_clamp 1
		.amdhsa_ieee_mode 1
		.amdhsa_fp16_overflow 0
		.amdhsa_exception_fp_ieee_invalid_op 0
		.amdhsa_exception_fp_denorm_src 0
		.amdhsa_exception_fp_ieee_div_zero 0
		.amdhsa_exception_fp_ieee_overflow 0
		.amdhsa_exception_fp_ieee_underflow 0
		.amdhsa_exception_fp_ieee_inexact 0
		.amdhsa_exception_int_div_zero 0
	.end_amdhsa_kernel
	.section	.text._ZN12_GLOBAL__N_141elementwise_kernel_with_index_grid_strideIlZZZN2at6native17linspace_cuda_outERKN3c106ScalarES6_lRNS1_6TensorEENKUlvE_clEvENKUlvE_clEvEUllE_EEvT_T0_PN15function_traitsISD_E11result_typeE,"axG",@progbits,_ZN12_GLOBAL__N_141elementwise_kernel_with_index_grid_strideIlZZZN2at6native17linspace_cuda_outERKN3c106ScalarES6_lRNS1_6TensorEENKUlvE_clEvENKUlvE_clEvEUllE_EEvT_T0_PN15function_traitsISD_E11result_typeE,comdat
.Lfunc_end1:
	.size	_ZN12_GLOBAL__N_141elementwise_kernel_with_index_grid_strideIlZZZN2at6native17linspace_cuda_outERKN3c106ScalarES6_lRNS1_6TensorEENKUlvE_clEvENKUlvE_clEvEUllE_EEvT_T0_PN15function_traitsISD_E11result_typeE, .Lfunc_end1-_ZN12_GLOBAL__N_141elementwise_kernel_with_index_grid_strideIlZZZN2at6native17linspace_cuda_outERKN3c106ScalarES6_lRNS1_6TensorEENKUlvE_clEvENKUlvE_clEvEUllE_EEvT_T0_PN15function_traitsISD_E11result_typeE
                                        ; -- End function
	.set _ZN12_GLOBAL__N_141elementwise_kernel_with_index_grid_strideIlZZZN2at6native17linspace_cuda_outERKN3c106ScalarES6_lRNS1_6TensorEENKUlvE_clEvENKUlvE_clEvEUllE_EEvT_T0_PN15function_traitsISD_E11result_typeE.num_vgpr, 30
	.set _ZN12_GLOBAL__N_141elementwise_kernel_with_index_grid_strideIlZZZN2at6native17linspace_cuda_outERKN3c106ScalarES6_lRNS1_6TensorEENKUlvE_clEvENKUlvE_clEvEUllE_EEvT_T0_PN15function_traitsISD_E11result_typeE.num_agpr, 0
	.set _ZN12_GLOBAL__N_141elementwise_kernel_with_index_grid_strideIlZZZN2at6native17linspace_cuda_outERKN3c106ScalarES6_lRNS1_6TensorEENKUlvE_clEvENKUlvE_clEvEUllE_EEvT_T0_PN15function_traitsISD_E11result_typeE.numbered_sgpr, 50
	.set _ZN12_GLOBAL__N_141elementwise_kernel_with_index_grid_strideIlZZZN2at6native17linspace_cuda_outERKN3c106ScalarES6_lRNS1_6TensorEENKUlvE_clEvENKUlvE_clEvEUllE_EEvT_T0_PN15function_traitsISD_E11result_typeE.num_named_barrier, 0
	.set _ZN12_GLOBAL__N_141elementwise_kernel_with_index_grid_strideIlZZZN2at6native17linspace_cuda_outERKN3c106ScalarES6_lRNS1_6TensorEENKUlvE_clEvENKUlvE_clEvEUllE_EEvT_T0_PN15function_traitsISD_E11result_typeE.private_seg_size, 0
	.set _ZN12_GLOBAL__N_141elementwise_kernel_with_index_grid_strideIlZZZN2at6native17linspace_cuda_outERKN3c106ScalarES6_lRNS1_6TensorEENKUlvE_clEvENKUlvE_clEvEUllE_EEvT_T0_PN15function_traitsISD_E11result_typeE.uses_vcc, 1
	.set _ZN12_GLOBAL__N_141elementwise_kernel_with_index_grid_strideIlZZZN2at6native17linspace_cuda_outERKN3c106ScalarES6_lRNS1_6TensorEENKUlvE_clEvENKUlvE_clEvEUllE_EEvT_T0_PN15function_traitsISD_E11result_typeE.uses_flat_scratch, 0
	.set _ZN12_GLOBAL__N_141elementwise_kernel_with_index_grid_strideIlZZZN2at6native17linspace_cuda_outERKN3c106ScalarES6_lRNS1_6TensorEENKUlvE_clEvENKUlvE_clEvEUllE_EEvT_T0_PN15function_traitsISD_E11result_typeE.has_dyn_sized_stack, 0
	.set _ZN12_GLOBAL__N_141elementwise_kernel_with_index_grid_strideIlZZZN2at6native17linspace_cuda_outERKN3c106ScalarES6_lRNS1_6TensorEENKUlvE_clEvENKUlvE_clEvEUllE_EEvT_T0_PN15function_traitsISD_E11result_typeE.has_recursion, 0
	.set _ZN12_GLOBAL__N_141elementwise_kernel_with_index_grid_strideIlZZZN2at6native17linspace_cuda_outERKN3c106ScalarES6_lRNS1_6TensorEENKUlvE_clEvENKUlvE_clEvEUllE_EEvT_T0_PN15function_traitsISD_E11result_typeE.has_indirect_call, 0
	.section	.AMDGPU.csdata,"",@progbits
; Kernel info:
; codeLenInByte = 2280
; TotalNumSgprs: 54
; NumVgprs: 30
; ScratchSize: 0
; MemoryBound: 0
; FloatMode: 240
; IeeeMode: 1
; LDSByteSize: 0 bytes/workgroup (compile time only)
; SGPRBlocks: 6
; VGPRBlocks: 7
; NumSGPRsForWavesPerEU: 54
; NumVGPRsForWavesPerEU: 30
; Occupancy: 8
; WaveLimiterHint : 0
; COMPUTE_PGM_RSRC2:SCRATCH_EN: 0
; COMPUTE_PGM_RSRC2:USER_SGPR: 6
; COMPUTE_PGM_RSRC2:TRAP_HANDLER: 0
; COMPUTE_PGM_RSRC2:TGID_X_EN: 1
; COMPUTE_PGM_RSRC2:TGID_Y_EN: 0
; COMPUTE_PGM_RSRC2:TGID_Z_EN: 0
; COMPUTE_PGM_RSRC2:TIDIG_COMP_CNT: 0
	.section	.text._ZN12_GLOBAL__N_141elementwise_kernel_with_index_grid_strideIiZZZN2at6native17linspace_cuda_outERKN3c106ScalarES6_lRNS1_6TensorEENKUlvE_clEvENKUlvE0_clEvEUllE_EEvT_T0_PN15function_traitsISD_E11result_typeE,"axG",@progbits,_ZN12_GLOBAL__N_141elementwise_kernel_with_index_grid_strideIiZZZN2at6native17linspace_cuda_outERKN3c106ScalarES6_lRNS1_6TensorEENKUlvE_clEvENKUlvE0_clEvEUllE_EEvT_T0_PN15function_traitsISD_E11result_typeE,comdat
	.globl	_ZN12_GLOBAL__N_141elementwise_kernel_with_index_grid_strideIiZZZN2at6native17linspace_cuda_outERKN3c106ScalarES6_lRNS1_6TensorEENKUlvE_clEvENKUlvE0_clEvEUllE_EEvT_T0_PN15function_traitsISD_E11result_typeE ; -- Begin function _ZN12_GLOBAL__N_141elementwise_kernel_with_index_grid_strideIiZZZN2at6native17linspace_cuda_outERKN3c106ScalarES6_lRNS1_6TensorEENKUlvE_clEvENKUlvE0_clEvEUllE_EEvT_T0_PN15function_traitsISD_E11result_typeE
	.p2align	8
	.type	_ZN12_GLOBAL__N_141elementwise_kernel_with_index_grid_strideIiZZZN2at6native17linspace_cuda_outERKN3c106ScalarES6_lRNS1_6TensorEENKUlvE_clEvENKUlvE0_clEvEUllE_EEvT_T0_PN15function_traitsISD_E11result_typeE,@function
_ZN12_GLOBAL__N_141elementwise_kernel_with_index_grid_strideIiZZZN2at6native17linspace_cuda_outERKN3c106ScalarES6_lRNS1_6TensorEENKUlvE_clEvENKUlvE0_clEvEUllE_EEvT_T0_PN15function_traitsISD_E11result_typeE: ; @_ZN12_GLOBAL__N_141elementwise_kernel_with_index_grid_strideIiZZZN2at6native17linspace_cuda_outERKN3c106ScalarES6_lRNS1_6TensorEENKUlvE_clEvENKUlvE0_clEvEUllE_EEvT_T0_PN15function_traitsISD_E11result_typeE
; %bb.0:
	s_load_dword s2, s[4:5], 0x3c
	s_load_dword s24, s[4:5], 0x0
	s_add_u32 s0, s4, 48
	s_addc_u32 s1, s5, 0
	s_waitcnt lgkmcnt(0)
	s_and_b32 s2, s2, 0xffff
	s_mul_i32 s3, s6, s2
	v_add_u32_e32 v1, s3, v0
	v_cmp_gt_i32_e32 vcc, s24, v1
	s_and_saveexec_b64 s[8:9], vcc
	s_cbranch_execz .LBB2_12
; %bb.1:
	s_load_dword s0, s[0:1], 0x0
	s_nop 0
	s_load_dwordx2 s[12:13], s[4:5], 0x10
	s_load_dword s26, s[4:5], 0x18
	s_load_dwordx4 s[8:11], s[4:5], 0x20
	s_load_dword s1, s[4:5], 0x8
	s_waitcnt lgkmcnt(0)
	s_mul_i32 s25, s0, s2
	v_cvt_f32_u32_e32 v2, s25
	s_and_b32 s3, s1, 0xffff
	s_bfe_i32 s4, s1, 0x80000
	s_sub_i32 s1, 0, s25
	v_rcp_iflag_f32_e32 v2, v2
	s_add_i32 s0, s6, s0
	s_mul_i32 s0, s0, s2
	v_add_u32_e32 v4, s0, v0
	v_mul_f32_e32 v2, 0x4f7ffffe, v2
	v_cvt_u32_f32_e32 v2, v2
	v_mov_b32_e32 v5, s0
	v_cmp_gt_i32_e32 vcc, s24, v4
	v_max_i32_e32 v6, s24, v4
	v_mul_lo_u32 v3, s1, v2
	v_addc_co_u32_e64 v0, s[0:1], v0, v5, vcc
	v_sub_u32_e32 v4, v6, v0
	v_mul_hi_u32 v3, v2, v3
	s_sext_i32_i16 s0, s3
	s_sext_i32_i16 s1, s4
	s_ashr_i32 s0, s0, 8
	v_add_u32_e32 v0, v2, v3
	v_mul_hi_u32 v2, v4, v0
	v_cvt_f32_i32_e32 v0, s1
	v_cvt_f32_i32_e32 v6, s0
	v_mul_lo_u32 v3, v2, s25
	v_add_u32_e32 v5, 1, v2
	v_sub_u32_e32 v3, v4, v3
	v_cmp_le_u32_e64 s[0:1], s25, v3
	v_subrev_u32_e32 v4, s25, v3
	v_cndmask_b32_e64 v2, v2, v5, s[0:1]
	v_cndmask_b32_e64 v3, v3, v4, s[0:1]
	v_add_u32_e32 v4, 1, v2
	v_cmp_le_u32_e64 s[0:1], s25, v3
	v_cndmask_b32_e64 v2, v2, v4, s[0:1]
	v_addc_co_u32_e32 v7, vcc, 1, v2, vcc
	v_cmp_lt_u32_e32 vcc, 3, v7
	s_mov_b64 s[0:1], -1
	s_and_saveexec_b64 s[6:7], vcc
	s_cbranch_execz .LBB2_5
; %bb.2:
	v_add_u32_e32 v2, s25, v1
	v_mad_u64_u32 v[4:5], s[0:1], s25, 3, v[1:2]
	v_lshl_add_u32 v3, s25, 1, v1
	v_and_b32_e32 v8, -4, v7
	s_lshl_b32 s34, s25, 2
	v_mov_b32_e32 v5, v4
	s_mov_b32 s14, s8
	s_mov_b32 s15, s9
	s_mov_b32 s16, s8
	s_mov_b32 s17, s9
	s_mov_b32 s18, s8
	s_mov_b32 s19, s9
	s_mov_b32 s20, s8
	s_mov_b32 s21, s9
	s_mov_b32 s27, s12
	s_mov_b32 s28, s12
	s_mov_b32 s29, s12
	s_mov_b32 s30, s26
	s_mov_b32 s31, s26
	s_mov_b32 s33, s26
	s_mov_b32 s35, s34
	s_mov_b32 s36, s34
	s_mov_b32 s37, s34
	s_mov_b64 s[22:23], 0
	v_mov_b32_e32 v9, s13
	v_mov_b32_e32 v10, s13
	;; [unrolled: 1-line block ×9, first 2 shown]
.LBB2_3:                                ; =>This Inner Loop Header: Depth=1
	v_ashrrev_i32_e32 v16, 31, v2
	v_mov_b32_e32 v15, v2
	v_add_co_u32_e32 v17, vcc, s10, v2
	v_cmp_gt_i64_e64 s[0:1], s[14:15], v[15:16]
	v_addc_co_u32_e32 v18, vcc, v13, v16, vcc
	v_ashrrev_i32_e32 v16, 31, v3
	v_mov_b32_e32 v15, v3
	v_cmp_gt_i64_e64 s[2:3], s[16:17], v[15:16]
	v_add_co_u32_e32 v15, vcc, s10, v3
	v_addc_co_u32_e32 v16, vcc, v13, v16, vcc
	v_ashrrev_i32_e32 v20, 31, v4
	v_mov_b32_e32 v19, v4
	v_cmp_gt_i64_e32 vcc, s[18:19], v[19:20]
	v_add_co_u32_e64 v19, s[4:5], s10, v4
	v_addc_co_u32_e64 v20, s[4:5], v13, v20, s[4:5]
	v_not_b32_e32 v21, v2
	v_ashrrev_i32_e32 v22, 31, v21
	v_add_co_u32_e64 v21, s[4:5], s12, v21
	v_addc_co_u32_e64 v22, s[4:5], v12, v22, s[4:5]
	v_xor_b32_e32 v23, v21, v22
	v_ashrrev_i32_e32 v23, 31, v23
	v_ffbh_i32_e32 v24, v22
	v_add_u32_e32 v24, -1, v24
	v_add_u32_e32 v23, 32, v23
	v_min_u32_e32 v23, v24, v23
	v_lshlrev_b64 v[21:22], v23, v[21:22]
	v_add_u32_e32 v14, -4, v14
	v_min_u32_e32 v21, 1, v21
	v_or_b32_e32 v24, v22, v21
	v_not_b32_e32 v21, v3
	v_ashrrev_i32_e32 v22, 31, v21
	v_add_co_u32_e64 v21, s[4:5], s27, v21
	v_addc_co_u32_e64 v22, s[4:5], v11, v22, s[4:5]
	v_xor_b32_e32 v25, v21, v22
	v_ashrrev_i32_e32 v25, 31, v25
	v_ffbh_i32_e32 v26, v22
	v_add_u32_e32 v26, -1, v26
	v_add_u32_e32 v25, 32, v25
	v_min_u32_e32 v25, v26, v25
	v_lshlrev_b64 v[21:22], v25, v[21:22]
	v_min_u32_e32 v21, 1, v21
	v_or_b32_e32 v21, v22, v21
	v_sub_u32_e32 v22, 32, v23
	v_cvt_f32_i32_e32 v23, v24
	v_cvt_f32_i32_e32 v21, v21
	v_ldexp_f32 v22, v23, v22
	v_sub_u32_e32 v23, 32, v25
	v_ldexp_f32 v21, v21, v23
	v_cvt_f32_i32_e32 v23, v2
	v_fma_f32 v22, -s26, v22, v6
	v_fma_f32 v21, -s30, v21, v6
	v_add_u32_e32 v2, s34, v2
	v_fma_f32 v23, s26, v23, v0
	v_cndmask_b32_e64 v22, v22, v23, s[0:1]
	v_cvt_f32_i32_e32 v23, v3
	v_cvt_i32_f32_e32 v22, v22
	v_add_u32_e32 v3, s35, v3
	v_fma_f32 v23, s30, v23, v0
	v_cndmask_b32_e64 v21, v21, v23, s[2:3]
	v_cvt_i32_f32_sdwa v21, v21 dst_sel:BYTE_1 dst_unused:UNUSED_PAD src0_sel:DWORD
	v_or_b32_sdwa v21, v22, v21 dst_sel:DWORD dst_unused:UNUSED_PAD src0_sel:BYTE_0 src1_sel:DWORD
	v_and_b32_e32 v21, 0xffff, v21
	global_store_byte v[17:18], v21, off
	v_lshrrev_b32_e32 v17, 8, v21
	global_store_byte v[15:16], v17, off
	v_ashrrev_i32_e32 v16, 31, v5
	v_mov_b32_e32 v15, v5
	v_cmp_gt_i64_e64 s[0:1], s[20:21], v[15:16]
	v_add_co_u32_e64 v15, s[2:3], s10, v5
	v_addc_co_u32_e64 v16, s[2:3], v13, v16, s[2:3]
	v_not_b32_e32 v17, v4
	v_ashrrev_i32_e32 v18, 31, v17
	v_add_co_u32_e64 v17, s[2:3], s28, v17
	v_addc_co_u32_e64 v18, s[2:3], v10, v18, s[2:3]
	v_xor_b32_e32 v21, v17, v18
	v_ashrrev_i32_e32 v21, 31, v21
	v_ffbh_i32_e32 v22, v18
	v_add_u32_e32 v22, -1, v22
	v_add_u32_e32 v21, 32, v21
	v_min_u32_e32 v21, v22, v21
	v_lshlrev_b64 v[17:18], v21, v[17:18]
	v_min_u32_e32 v17, 1, v17
	v_or_b32_e32 v22, v18, v17
	v_not_b32_e32 v17, v5
	v_ashrrev_i32_e32 v18, 31, v17
	v_add_co_u32_e64 v17, s[2:3], s29, v17
	v_addc_co_u32_e64 v18, s[2:3], v9, v18, s[2:3]
	v_xor_b32_e32 v23, v17, v18
	v_ashrrev_i32_e32 v23, 31, v23
	v_ffbh_i32_e32 v24, v18
	v_add_u32_e32 v24, -1, v24
	v_add_u32_e32 v23, 32, v23
	v_min_u32_e32 v23, v24, v23
	v_lshlrev_b64 v[17:18], v23, v[17:18]
	v_min_u32_e32 v17, 1, v17
	v_or_b32_e32 v17, v18, v17
	v_sub_u32_e32 v18, 32, v21
	v_cvt_f32_i32_e32 v21, v22
	v_cvt_f32_i32_e32 v17, v17
	v_ldexp_f32 v18, v21, v18
	v_sub_u32_e32 v21, 32, v23
	v_ldexp_f32 v17, v17, v21
	v_cvt_f32_i32_e32 v21, v4
	v_fma_f32 v18, -s31, v18, v6
	v_fma_f32 v17, -s33, v17, v6
	v_add_u32_e32 v4, s36, v4
	v_fma_f32 v21, s31, v21, v0
	v_cndmask_b32_e32 v18, v18, v21, vcc
	v_cvt_f32_i32_e32 v21, v5
	v_cvt_i32_f32_e32 v18, v18
	v_cmp_eq_u32_e32 vcc, 0, v14
	v_add_u32_e32 v5, s37, v5
	v_fma_f32 v21, s33, v21, v0
	v_cndmask_b32_e64 v17, v17, v21, s[0:1]
	v_cvt_i32_f32_sdwa v17, v17 dst_sel:BYTE_1 dst_unused:UNUSED_PAD src0_sel:DWORD
	s_or_b64 s[22:23], vcc, s[22:23]
	v_or_b32_sdwa v17, v18, v17 dst_sel:DWORD dst_unused:UNUSED_PAD src0_sel:BYTE_0 src1_sel:DWORD
	global_store_byte v[19:20], v17, off
	v_lshrrev_b32_e32 v17, 8, v17
	global_store_byte v[15:16], v17, off
	s_andn2_b64 exec, exec, s[22:23]
	s_cbranch_execnz .LBB2_3
; %bb.4:
	s_or_b64 exec, exec, s[22:23]
	v_mad_u64_u32 v[1:2], s[0:1], v8, s25, v[1:2]
	v_cmp_ne_u32_e32 vcc, v7, v8
	s_orn2_b64 s[0:1], vcc, exec
.LBB2_5:
	s_or_b64 exec, exec, s[6:7]
	s_and_b64 exec, exec, s[0:1]
	s_cbranch_execz .LBB2_12
; %bb.6:
	v_ashrrev_i32_e32 v2, 31, v1
	v_not_b32_e32 v3, v1
	v_not_b32_e32 v4, v2
	v_mov_b32_e32 v5, s13
	v_add_co_u32_e32 v3, vcc, s12, v3
	s_ashr_i32 s2, s25, 31
	v_addc_co_u32_e32 v4, vcc, v4, v5, vcc
	s_mov_b64 s[0:1], 0
	v_mov_b32_e32 v5, s11
	v_mov_b32_e32 v7, s2
	s_branch .LBB2_8
.LBB2_7:                                ;   in Loop: Header=BB2_8 Depth=1
	s_or_b64 exec, exec, s[2:3]
	v_cvt_i32_f32_e32 v10, v8
	v_add_co_u32_e32 v8, vcc, s10, v1
	v_addc_co_u32_e32 v9, vcc, v5, v2, vcc
	v_add_co_u32_e32 v1, vcc, s25, v1
	v_addc_co_u32_e32 v2, vcc, v2, v7, vcc
	v_cmp_le_i32_e32 vcc, s24, v1
	s_or_b64 s[0:1], vcc, s[0:1]
	v_subrev_co_u32_e32 v3, vcc, s25, v3
	v_subb_co_u32_e32 v4, vcc, v4, v7, vcc
	global_store_byte v[8:9], v10, off
	s_andn2_b64 exec, exec, s[0:1]
	s_cbranch_execz .LBB2_12
.LBB2_8:                                ; =>This Inner Loop Header: Depth=1
	v_cmp_le_i64_e32 vcc, s[8:9], v[1:2]
                                        ; implicit-def: $vgpr8
	s_and_saveexec_b64 s[2:3], vcc
	s_xor_b64 s[2:3], exec, s[2:3]
	s_cbranch_execz .LBB2_10
; %bb.9:                                ;   in Loop: Header=BB2_8 Depth=1
	v_xor_b32_e32 v9, v3, v4
	v_ffbh_i32_e32 v8, v4
	v_ashrrev_i32_e32 v9, 31, v9
	v_add_u32_e32 v8, -1, v8
	v_add_u32_e32 v9, 32, v9
	v_min_u32_e32 v10, v8, v9
	v_lshlrev_b64 v[8:9], v10, v[3:4]
	v_min_u32_e32 v8, 1, v8
	v_or_b32_e32 v8, v9, v8
	v_cvt_f32_i32_e32 v8, v8
	v_sub_u32_e32 v9, 32, v10
	v_ldexp_f32 v8, v8, v9
	v_fma_f32 v8, -s26, v8, v6
.LBB2_10:                               ;   in Loop: Header=BB2_8 Depth=1
	s_andn2_saveexec_b64 s[2:3], s[2:3]
	s_cbranch_execz .LBB2_7
; %bb.11:                               ;   in Loop: Header=BB2_8 Depth=1
	v_cvt_f32_i32_e32 v8, v1
	v_fma_f32 v8, s26, v8, v0
	s_branch .LBB2_7
.LBB2_12:
	s_endpgm
	.section	.rodata,"a",@progbits
	.p2align	6, 0x0
	.amdhsa_kernel _ZN12_GLOBAL__N_141elementwise_kernel_with_index_grid_strideIiZZZN2at6native17linspace_cuda_outERKN3c106ScalarES6_lRNS1_6TensorEENKUlvE_clEvENKUlvE0_clEvEUllE_EEvT_T0_PN15function_traitsISD_E11result_typeE
		.amdhsa_group_segment_fixed_size 0
		.amdhsa_private_segment_fixed_size 0
		.amdhsa_kernarg_size 304
		.amdhsa_user_sgpr_count 6
		.amdhsa_user_sgpr_private_segment_buffer 1
		.amdhsa_user_sgpr_dispatch_ptr 0
		.amdhsa_user_sgpr_queue_ptr 0
		.amdhsa_user_sgpr_kernarg_segment_ptr 1
		.amdhsa_user_sgpr_dispatch_id 0
		.amdhsa_user_sgpr_flat_scratch_init 0
		.amdhsa_user_sgpr_private_segment_size 0
		.amdhsa_uses_dynamic_stack 0
		.amdhsa_system_sgpr_private_segment_wavefront_offset 0
		.amdhsa_system_sgpr_workgroup_id_x 1
		.amdhsa_system_sgpr_workgroup_id_y 0
		.amdhsa_system_sgpr_workgroup_id_z 0
		.amdhsa_system_sgpr_workgroup_info 0
		.amdhsa_system_vgpr_workitem_id 0
		.amdhsa_next_free_vgpr 27
		.amdhsa_next_free_sgpr 38
		.amdhsa_reserve_vcc 1
		.amdhsa_reserve_flat_scratch 0
		.amdhsa_float_round_mode_32 0
		.amdhsa_float_round_mode_16_64 0
		.amdhsa_float_denorm_mode_32 3
		.amdhsa_float_denorm_mode_16_64 3
		.amdhsa_dx10_clamp 1
		.amdhsa_ieee_mode 1
		.amdhsa_fp16_overflow 0
		.amdhsa_exception_fp_ieee_invalid_op 0
		.amdhsa_exception_fp_denorm_src 0
		.amdhsa_exception_fp_ieee_div_zero 0
		.amdhsa_exception_fp_ieee_overflow 0
		.amdhsa_exception_fp_ieee_underflow 0
		.amdhsa_exception_fp_ieee_inexact 0
		.amdhsa_exception_int_div_zero 0
	.end_amdhsa_kernel
	.section	.text._ZN12_GLOBAL__N_141elementwise_kernel_with_index_grid_strideIiZZZN2at6native17linspace_cuda_outERKN3c106ScalarES6_lRNS1_6TensorEENKUlvE_clEvENKUlvE0_clEvEUllE_EEvT_T0_PN15function_traitsISD_E11result_typeE,"axG",@progbits,_ZN12_GLOBAL__N_141elementwise_kernel_with_index_grid_strideIiZZZN2at6native17linspace_cuda_outERKN3c106ScalarES6_lRNS1_6TensorEENKUlvE_clEvENKUlvE0_clEvEUllE_EEvT_T0_PN15function_traitsISD_E11result_typeE,comdat
.Lfunc_end2:
	.size	_ZN12_GLOBAL__N_141elementwise_kernel_with_index_grid_strideIiZZZN2at6native17linspace_cuda_outERKN3c106ScalarES6_lRNS1_6TensorEENKUlvE_clEvENKUlvE0_clEvEUllE_EEvT_T0_PN15function_traitsISD_E11result_typeE, .Lfunc_end2-_ZN12_GLOBAL__N_141elementwise_kernel_with_index_grid_strideIiZZZN2at6native17linspace_cuda_outERKN3c106ScalarES6_lRNS1_6TensorEENKUlvE_clEvENKUlvE0_clEvEUllE_EEvT_T0_PN15function_traitsISD_E11result_typeE
                                        ; -- End function
	.set _ZN12_GLOBAL__N_141elementwise_kernel_with_index_grid_strideIiZZZN2at6native17linspace_cuda_outERKN3c106ScalarES6_lRNS1_6TensorEENKUlvE_clEvENKUlvE0_clEvEUllE_EEvT_T0_PN15function_traitsISD_E11result_typeE.num_vgpr, 27
	.set _ZN12_GLOBAL__N_141elementwise_kernel_with_index_grid_strideIiZZZN2at6native17linspace_cuda_outERKN3c106ScalarES6_lRNS1_6TensorEENKUlvE_clEvENKUlvE0_clEvEUllE_EEvT_T0_PN15function_traitsISD_E11result_typeE.num_agpr, 0
	.set _ZN12_GLOBAL__N_141elementwise_kernel_with_index_grid_strideIiZZZN2at6native17linspace_cuda_outERKN3c106ScalarES6_lRNS1_6TensorEENKUlvE_clEvENKUlvE0_clEvEUllE_EEvT_T0_PN15function_traitsISD_E11result_typeE.numbered_sgpr, 38
	.set _ZN12_GLOBAL__N_141elementwise_kernel_with_index_grid_strideIiZZZN2at6native17linspace_cuda_outERKN3c106ScalarES6_lRNS1_6TensorEENKUlvE_clEvENKUlvE0_clEvEUllE_EEvT_T0_PN15function_traitsISD_E11result_typeE.num_named_barrier, 0
	.set _ZN12_GLOBAL__N_141elementwise_kernel_with_index_grid_strideIiZZZN2at6native17linspace_cuda_outERKN3c106ScalarES6_lRNS1_6TensorEENKUlvE_clEvENKUlvE0_clEvEUllE_EEvT_T0_PN15function_traitsISD_E11result_typeE.private_seg_size, 0
	.set _ZN12_GLOBAL__N_141elementwise_kernel_with_index_grid_strideIiZZZN2at6native17linspace_cuda_outERKN3c106ScalarES6_lRNS1_6TensorEENKUlvE_clEvENKUlvE0_clEvEUllE_EEvT_T0_PN15function_traitsISD_E11result_typeE.uses_vcc, 1
	.set _ZN12_GLOBAL__N_141elementwise_kernel_with_index_grid_strideIiZZZN2at6native17linspace_cuda_outERKN3c106ScalarES6_lRNS1_6TensorEENKUlvE_clEvENKUlvE0_clEvEUllE_EEvT_T0_PN15function_traitsISD_E11result_typeE.uses_flat_scratch, 0
	.set _ZN12_GLOBAL__N_141elementwise_kernel_with_index_grid_strideIiZZZN2at6native17linspace_cuda_outERKN3c106ScalarES6_lRNS1_6TensorEENKUlvE_clEvENKUlvE0_clEvEUllE_EEvT_T0_PN15function_traitsISD_E11result_typeE.has_dyn_sized_stack, 0
	.set _ZN12_GLOBAL__N_141elementwise_kernel_with_index_grid_strideIiZZZN2at6native17linspace_cuda_outERKN3c106ScalarES6_lRNS1_6TensorEENKUlvE_clEvENKUlvE0_clEvEUllE_EEvT_T0_PN15function_traitsISD_E11result_typeE.has_recursion, 0
	.set _ZN12_GLOBAL__N_141elementwise_kernel_with_index_grid_strideIiZZZN2at6native17linspace_cuda_outERKN3c106ScalarES6_lRNS1_6TensorEENKUlvE_clEvENKUlvE0_clEvEUllE_EEvT_T0_PN15function_traitsISD_E11result_typeE.has_indirect_call, 0
	.section	.AMDGPU.csdata,"",@progbits
; Kernel info:
; codeLenInByte = 1356
; TotalNumSgprs: 42
; NumVgprs: 27
; ScratchSize: 0
; MemoryBound: 0
; FloatMode: 240
; IeeeMode: 1
; LDSByteSize: 0 bytes/workgroup (compile time only)
; SGPRBlocks: 5
; VGPRBlocks: 6
; NumSGPRsForWavesPerEU: 42
; NumVGPRsForWavesPerEU: 27
; Occupancy: 9
; WaveLimiterHint : 0
; COMPUTE_PGM_RSRC2:SCRATCH_EN: 0
; COMPUTE_PGM_RSRC2:USER_SGPR: 6
; COMPUTE_PGM_RSRC2:TRAP_HANDLER: 0
; COMPUTE_PGM_RSRC2:TGID_X_EN: 1
; COMPUTE_PGM_RSRC2:TGID_Y_EN: 0
; COMPUTE_PGM_RSRC2:TGID_Z_EN: 0
; COMPUTE_PGM_RSRC2:TIDIG_COMP_CNT: 0
	.section	.text._ZN12_GLOBAL__N_141elementwise_kernel_with_index_grid_strideIlZZZN2at6native17linspace_cuda_outERKN3c106ScalarES6_lRNS1_6TensorEENKUlvE_clEvENKUlvE0_clEvEUllE_EEvT_T0_PN15function_traitsISD_E11result_typeE,"axG",@progbits,_ZN12_GLOBAL__N_141elementwise_kernel_with_index_grid_strideIlZZZN2at6native17linspace_cuda_outERKN3c106ScalarES6_lRNS1_6TensorEENKUlvE_clEvENKUlvE0_clEvEUllE_EEvT_T0_PN15function_traitsISD_E11result_typeE,comdat
	.globl	_ZN12_GLOBAL__N_141elementwise_kernel_with_index_grid_strideIlZZZN2at6native17linspace_cuda_outERKN3c106ScalarES6_lRNS1_6TensorEENKUlvE_clEvENKUlvE0_clEvEUllE_EEvT_T0_PN15function_traitsISD_E11result_typeE ; -- Begin function _ZN12_GLOBAL__N_141elementwise_kernel_with_index_grid_strideIlZZZN2at6native17linspace_cuda_outERKN3c106ScalarES6_lRNS1_6TensorEENKUlvE_clEvENKUlvE0_clEvEUllE_EEvT_T0_PN15function_traitsISD_E11result_typeE
	.p2align	8
	.type	_ZN12_GLOBAL__N_141elementwise_kernel_with_index_grid_strideIlZZZN2at6native17linspace_cuda_outERKN3c106ScalarES6_lRNS1_6TensorEENKUlvE_clEvENKUlvE0_clEvEUllE_EEvT_T0_PN15function_traitsISD_E11result_typeE,@function
_ZN12_GLOBAL__N_141elementwise_kernel_with_index_grid_strideIlZZZN2at6native17linspace_cuda_outERKN3c106ScalarES6_lRNS1_6TensorEENKUlvE_clEvENKUlvE0_clEvEUllE_EEvT_T0_PN15function_traitsISD_E11result_typeE: ; @_ZN12_GLOBAL__N_141elementwise_kernel_with_index_grid_strideIlZZZN2at6native17linspace_cuda_outERKN3c106ScalarES6_lRNS1_6TensorEENKUlvE_clEvENKUlvE0_clEvEUllE_EEvT_T0_PN15function_traitsISD_E11result_typeE
; %bb.0:
	s_load_dword s2, s[4:5], 0x3c
	s_load_dwordx2 s[8:9], s[4:5], 0x0
	s_add_u32 s0, s4, 48
	s_addc_u32 s1, s5, 0
	v_mov_b32_e32 v3, 0
	s_waitcnt lgkmcnt(0)
	s_and_b32 s7, s2, 0xffff
	s_mul_hi_u32 s26, s7, s6
	s_mul_i32 s27, s7, s6
	v_mov_b32_e32 v2, s26
	v_add_co_u32_e32 v1, vcc, s27, v0
	v_addc_co_u32_e32 v2, vcc, 0, v2, vcc
	v_cmp_gt_i64_e32 vcc, s[8:9], v[1:2]
	s_and_saveexec_b64 s[2:3], vcc
	s_cbranch_execz .LBB3_16
; %bb.1:
	s_load_dword s24, s[0:1], 0x0
	v_mov_b32_e32 v5, s8
	s_load_dword s16, s[4:5], 0x8
	s_mov_b32 s25, 0
	s_waitcnt lgkmcnt(0)
	s_add_u32 s0, s6, s24
	s_addc_u32 s1, 0, 0
	s_mul_hi_u32 s2, s0, s7
	s_mul_i32 s1, s1, s7
	s_add_i32 s28, s2, s1
	s_mul_i32 s29, s0, s7
	v_mov_b32_e32 v4, s28
	v_add_co_u32_e32 v6, vcc, s29, v0
	v_addc_co_u32_e32 v7, vcc, 0, v4, vcc
	v_cmp_gt_i64_e32 vcc, s[8:9], v[6:7]
	v_mov_b32_e32 v4, s9
	v_cndmask_b32_e32 v8, v6, v5, vcc
	v_cndmask_b32_e64 v5, 0, 1, vcc
	v_cndmask_b32_e32 v4, v7, v4, vcc
	v_add_co_u32_e32 v6, vcc, v6, v5
	v_addc_co_u32_e32 v7, vcc, 0, v7, vcc
	v_sub_co_u32_e32 v6, vcc, v8, v6
	s_mul_hi_u32 s11, s7, s24
	v_subb_co_u32_e32 v7, vcc, v4, v7, vcc
	v_or_b32_e32 v4, s11, v7
	v_cmp_ne_u64_e32 vcc, 0, v[3:4]
	s_mul_i32 s10, s7, s24
                                        ; implicit-def: $vgpr3_vgpr4
	s_and_saveexec_b64 s[0:1], vcc
	s_xor_b64 s[2:3], exec, s[0:1]
	s_cbranch_execz .LBB3_3
; %bb.2:
	v_cvt_f32_u32_e32 v3, s10
	v_cvt_f32_u32_e32 v4, s11
	s_sub_u32 s12, 0, s10
	s_subb_u32 s13, 0, s11
	v_madmk_f32 v3, v4, 0x4f800000, v3
	v_rcp_f32_e32 v3, v3
	v_mul_f32_e32 v3, 0x5f7ffffc, v3
	v_mul_f32_e32 v4, 0x2f800000, v3
	v_trunc_f32_e32 v4, v4
	v_madmk_f32 v3, v4, 0xcf800000, v3
	v_cvt_u32_f32_e32 v4, v4
	v_cvt_u32_f32_e32 v3, v3
	v_readfirstlane_b32 s14, v4
	v_readfirstlane_b32 s0, v3
	s_mul_i32 s1, s12, s14
	s_mul_hi_u32 s17, s12, s0
	s_mul_i32 s15, s13, s0
	s_add_i32 s1, s17, s1
	s_mul_i32 s18, s12, s0
	s_add_i32 s1, s1, s15
	s_mul_i32 s17, s0, s1
	s_mul_hi_u32 s19, s0, s18
	s_mul_hi_u32 s15, s0, s1
	s_add_u32 s17, s19, s17
	s_addc_u32 s15, 0, s15
	s_mul_hi_u32 s20, s14, s18
	s_mul_i32 s18, s14, s18
	s_add_u32 s17, s17, s18
	s_mul_hi_u32 s19, s14, s1
	s_addc_u32 s15, s15, s20
	s_addc_u32 s17, s19, 0
	s_mul_i32 s1, s14, s1
	s_add_u32 s1, s15, s1
	s_addc_u32 s15, 0, s17
	s_add_u32 s17, s0, s1
	s_cselect_b64 s[0:1], -1, 0
	s_cmp_lg_u64 s[0:1], 0
	s_addc_u32 s14, s14, s15
	s_mul_i32 s0, s12, s14
	s_mul_hi_u32 s1, s12, s17
	s_add_i32 s0, s1, s0
	s_mul_i32 s13, s13, s17
	s_add_i32 s0, s0, s13
	s_mul_i32 s12, s12, s17
	s_mul_hi_u32 s13, s14, s12
	s_mul_i32 s15, s14, s12
	s_mul_i32 s19, s17, s0
	s_mul_hi_u32 s12, s17, s12
	s_mul_hi_u32 s18, s17, s0
	s_add_u32 s12, s12, s19
	s_addc_u32 s18, 0, s18
	s_add_u32 s12, s12, s15
	s_mul_hi_u32 s1, s14, s0
	s_addc_u32 s12, s18, s13
	s_addc_u32 s1, s1, 0
	s_mul_i32 s0, s14, s0
	s_add_u32 s0, s12, s0
	s_addc_u32 s12, 0, s1
	s_add_u32 s13, s17, s0
	s_cselect_b64 s[0:1], -1, 0
	s_cmp_lg_u64 s[0:1], 0
	s_addc_u32 s12, s14, s12
	v_mad_u64_u32 v[3:4], s[0:1], v6, s12, 0
	v_mul_hi_u32 v8, v6, s13
	v_add_co_u32_e32 v10, vcc, v8, v3
	v_addc_co_u32_e32 v11, vcc, 0, v4, vcc
	v_mad_u64_u32 v[3:4], s[0:1], v7, s13, 0
	v_mad_u64_u32 v[8:9], s[0:1], v7, s12, 0
	v_add_co_u32_e32 v3, vcc, v10, v3
	v_addc_co_u32_e32 v3, vcc, v11, v4, vcc
	v_addc_co_u32_e32 v4, vcc, 0, v9, vcc
	v_add_co_u32_e32 v8, vcc, v3, v8
	v_addc_co_u32_e32 v9, vcc, 0, v4, vcc
	v_mul_lo_u32 v10, s11, v8
	v_mul_lo_u32 v11, s10, v9
	v_mad_u64_u32 v[3:4], s[0:1], s10, v8, 0
	v_add3_u32 v4, v4, v11, v10
	v_sub_u32_e32 v10, v7, v4
	v_mov_b32_e32 v11, s11
	v_sub_co_u32_e32 v3, vcc, v6, v3
	v_subb_co_u32_e64 v6, s[0:1], v10, v11, vcc
	v_subrev_co_u32_e64 v10, s[0:1], s10, v3
	v_subbrev_co_u32_e64 v6, s[0:1], 0, v6, s[0:1]
	v_cmp_le_u32_e64 s[0:1], s11, v6
	v_cndmask_b32_e64 v11, 0, -1, s[0:1]
	v_cmp_le_u32_e64 s[0:1], s10, v10
	v_cndmask_b32_e64 v10, 0, -1, s[0:1]
	v_cmp_eq_u32_e64 s[0:1], s11, v6
	v_cndmask_b32_e64 v6, v11, v10, s[0:1]
	v_add_co_u32_e64 v10, s[0:1], 2, v8
	v_subb_co_u32_e32 v4, vcc, v7, v4, vcc
	v_addc_co_u32_e64 v11, s[0:1], 0, v9, s[0:1]
	v_cmp_le_u32_e32 vcc, s11, v4
	v_add_co_u32_e64 v12, s[0:1], 1, v8
	v_cndmask_b32_e64 v7, 0, -1, vcc
	v_cmp_le_u32_e32 vcc, s10, v3
	v_addc_co_u32_e64 v13, s[0:1], 0, v9, s[0:1]
	v_cndmask_b32_e64 v3, 0, -1, vcc
	v_cmp_eq_u32_e32 vcc, s11, v4
	v_cmp_ne_u32_e64 s[0:1], 0, v6
	v_cndmask_b32_e32 v3, v7, v3, vcc
	v_cndmask_b32_e64 v6, v13, v11, s[0:1]
	v_cmp_ne_u32_e32 vcc, 0, v3
	v_cndmask_b32_e64 v3, v12, v10, s[0:1]
	v_cndmask_b32_e32 v4, v9, v6, vcc
	v_cndmask_b32_e32 v3, v8, v3, vcc
                                        ; implicit-def: $vgpr6
.LBB3_3:
	s_or_saveexec_b64 s[14:15], s[2:3]
	s_load_dwordx2 s[12:13], s[4:5], 0x10
	s_load_dwordx4 s[0:3], s[4:5], 0x20
	s_bfe_u32 s17, s16, 0x80008
	s_xor_b64 exec, exec, s[14:15]
	s_cbranch_execz .LBB3_5
; %bb.4:
	v_cvt_f32_u32_e32 v3, s10
	s_sub_i32 s18, 0, s10
	v_rcp_iflag_f32_e32 v3, v3
	v_mul_f32_e32 v3, 0x4f7ffffe, v3
	v_cvt_u32_f32_e32 v3, v3
	v_mul_lo_u32 v4, s18, v3
	v_mul_hi_u32 v4, v3, v4
	v_add_u32_e32 v3, v3, v4
	v_mul_hi_u32 v3, v6, v3
	v_mul_lo_u32 v4, v3, s10
	v_add_u32_e32 v7, 1, v3
	v_sub_u32_e32 v4, v6, v4
	v_subrev_u32_e32 v6, s10, v4
	v_cmp_le_u32_e32 vcc, s10, v4
	v_cndmask_b32_e32 v4, v4, v6, vcc
	v_cndmask_b32_e32 v3, v3, v7, vcc
	v_add_u32_e32 v6, 1, v3
	v_cmp_le_u32_e32 vcc, s10, v4
	v_cndmask_b32_e32 v3, v3, v6, vcc
	v_mov_b32_e32 v4, 0
.LBB3_5:
	s_or_b64 exec, exec, s[14:15]
	s_load_dword s30, s[4:5], 0x18
	s_bfe_i32 s4, s16, 0x80000
	s_bfe_i32 s5, s17, 0x80000
	v_add_co_u32_e32 v3, vcc, v3, v5
	s_sext_i32_i16 s5, s5
	s_sext_i32_i16 s4, s4
	v_addc_co_u32_e32 v4, vcc, 0, v4, vcc
	v_cvt_f32_i32_e32 v17, s5
	v_cvt_f32_i32_e32 v18, s4
	v_add_co_u32_e32 v11, vcc, 1, v3
	v_addc_co_u32_e32 v12, vcc, 0, v4, vcc
	v_cmp_lt_u64_e32 vcc, 3, v[11:12]
	s_mov_b64 s[14:15], -1
	s_and_saveexec_b64 s[4:5], vcc
	s_cbranch_execz .LBB3_9
; %bb.6:
	v_mad_u64_u32 v[7:8], s[22:23], s10, 3, v[1:2]
	v_mad_u64_u32 v[5:6], s[22:23], s10, 2, v[1:2]
	;; [unrolled: 1-line block ×4, first 2 shown]
	s_lshl_b64 s[22:23], s[10:11], 2
	s_mul_i32 s48, s24, 3
	s_mul_hi_u32 s47, s24, 3
	s_add_u32 s48, s48, s6
	s_addc_u32 s47, s47, 0
	s_mul_i32 s47, s47, s7
	s_mul_hi_u32 s49, s48, s7
	s_add_i32 s47, s49, s47
	s_lshl_b64 s[24:25], s[24:25], 1
	s_add_u32 s6, s24, s6
	v_mov_b32_e32 v14, v12
	v_lshl_add_u32 v6, s11, 1, v6
	v_add_u32_e32 v4, s11, v4
	s_waitcnt lgkmcnt(0)
	v_mov_b32_e32 v9, s3
	v_add_co_u32_e32 v0, vcc, s2, v0
	s_addc_u32 s24, s25, 0
	v_and_b32_e32 v13, -4, v11
	v_addc_co_u32_e32 v19, vcc, 0, v9, vcc
	s_mul_i32 s24, s24, s7
	s_mul_hi_u32 s25, s6, s7
	v_mov_b32_e32 v16, v14
	v_mov_b32_e32 v10, v8
	s_mov_b32 s14, s0
	s_mov_b32 s15, s1
	;; [unrolled: 1-line block ×23, first 2 shown]
	s_mul_i32 s48, s48, s7
	s_add_i32 s24, s25, s24
	s_mul_i32 s25, s6, s7
	s_mov_b64 s[6:7], 0
	v_mov_b32_e32 v15, v13
	v_mov_b32_e32 v9, v7
	;; [unrolled: 1-line block ×8, first 2 shown]
.LBB3_7:                                ; =>This Inner Loop Header: Depth=1
	v_not_b32_e32 v20, v5
	v_not_b32_e32 v21, v6
	v_mov_b32_e32 v22, s33
	v_add_co_u32_e32 v20, vcc, s31, v20
	v_addc_co_u32_e32 v21, vcc, v22, v21, vcc
	v_not_b32_e32 v22, v3
	v_not_b32_e32 v23, v4
	v_mov_b32_e32 v24, s13
	v_add_co_u32_e32 v22, vcc, s12, v22
	v_addc_co_u32_e32 v23, vcc, v24, v23, vcc
	v_ffbh_u32_e32 v24, v4
	v_min_u32_e32 v26, 32, v24
	v_lshlrev_b64 v[24:25], v26, v[3:4]
	v_ffbh_i32_e32 v29, v23
	v_min_u32_e32 v24, 1, v24
	v_or_b32_e32 v27, v25, v24
	v_ffbh_u32_e32 v24, v6
	v_min_u32_e32 v28, 32, v24
	v_lshlrev_b64 v[24:25], v28, v[5:6]
	v_add_u32_e32 v29, -1, v29
	v_min_u32_e32 v24, 1, v24
	v_or_b32_e32 v24, v25, v24
	v_xor_b32_e32 v25, v22, v23
	v_ashrrev_i32_e32 v25, 31, v25
	v_add_u32_e32 v25, 32, v25
	v_min_u32_e32 v25, v29, v25
	v_lshlrev_b64 v[22:23], v25, v[22:23]
	v_ffbh_i32_e32 v29, v21
	v_min_u32_e32 v22, 1, v22
	v_or_b32_e32 v22, v23, v22
	v_xor_b32_e32 v23, v20, v21
	v_ashrrev_i32_e32 v23, 31, v23
	v_add_u32_e32 v29, -1, v29
	v_add_u32_e32 v23, 32, v23
	v_min_u32_e32 v23, v29, v23
	v_lshlrev_b64 v[20:21], v23, v[20:21]
	v_cvt_f32_i32_e32 v22, v22
	v_min_u32_e32 v20, 1, v20
	v_or_b32_e32 v29, v21, v20
	v_cvt_f32_u32_e32 v27, v27
	v_sub_u32_e32 v25, 32, v25
	v_ldexp_f32 v22, v22, v25
	v_cvt_f32_i32_e32 v25, v29
	v_mov_b32_e32 v21, s26
	v_add_co_u32_e32 v20, vcc, s27, v0
	v_cvt_f32_u32_e32 v24, v24
	v_addc_co_u32_e32 v21, vcc, v19, v21, vcc
	v_sub_u32_e32 v26, 32, v26
	v_ldexp_f32 v26, v27, v26
	v_sub_u32_e32 v23, 32, v23
	v_cmp_gt_i64_e32 vcc, s[14:15], v[3:4]
	v_sub_u32_e32 v27, 32, v28
	v_ldexp_f32 v23, v25, v23
	v_fma_f32 v25, s30, v26, v18
	v_fma_f32 v22, -s30, v22, v17
	v_ldexp_f32 v24, v24, v27
	v_cndmask_b32_e32 v22, v22, v25, vcc
	v_cmp_gt_i64_e32 vcc, s[16:17], v[5:6]
	v_fma_f32 v24, s38, v24, v18
	v_fma_f32 v23, -s38, v23, v17
	v_cndmask_b32_e32 v23, v23, v24, vcc
	v_cvt_i32_f32_sdwa v23, v23 dst_sel:BYTE_1 dst_unused:UNUSED_PAD src0_sel:DWORD
	v_cvt_i32_f32_e32 v22, v22
	v_mov_b32_e32 v24, s35
	v_or_b32_sdwa v22, v22, v23 dst_sel:DWORD dst_unused:UNUSED_PAD src0_sel:BYTE_0 src1_sel:DWORD
	v_and_b32_e32 v22, 0xffff, v22
	global_store_byte v[20:21], v22, off
	v_add_co_u32_e32 v20, vcc, s29, v0
	v_mov_b32_e32 v21, s28
	v_addc_co_u32_e32 v21, vcc, v19, v21, vcc
	v_lshrrev_b32_e32 v22, 8, v22
	global_store_byte v[20:21], v22, off
	v_not_b32_e32 v20, v9
	v_not_b32_e32 v21, v10
	v_mov_b32_e32 v22, s37
	v_add_co_u32_e32 v20, vcc, s36, v20
	v_addc_co_u32_e32 v21, vcc, v22, v21, vcc
	v_not_b32_e32 v22, v7
	v_not_b32_e32 v23, v8
	v_add_co_u32_e32 v22, vcc, s34, v22
	v_addc_co_u32_e32 v23, vcc, v24, v23, vcc
	v_ffbh_u32_e32 v24, v8
	v_min_u32_e32 v26, 32, v24
	v_lshlrev_b64 v[24:25], v26, v[7:8]
	v_ffbh_i32_e32 v29, v23
	v_min_u32_e32 v24, 1, v24
	v_or_b32_e32 v27, v25, v24
	v_ffbh_u32_e32 v24, v10
	v_min_u32_e32 v28, 32, v24
	v_lshlrev_b64 v[24:25], v28, v[9:10]
	v_add_u32_e32 v29, -1, v29
	v_min_u32_e32 v24, 1, v24
	v_or_b32_e32 v24, v25, v24
	v_xor_b32_e32 v25, v22, v23
	v_ashrrev_i32_e32 v25, 31, v25
	v_add_u32_e32 v25, 32, v25
	v_min_u32_e32 v25, v29, v25
	v_lshlrev_b64 v[22:23], v25, v[22:23]
	v_ffbh_i32_e32 v29, v21
	v_min_u32_e32 v22, 1, v22
	v_or_b32_e32 v22, v23, v22
	v_xor_b32_e32 v23, v20, v21
	v_ashrrev_i32_e32 v23, 31, v23
	v_add_u32_e32 v29, -1, v29
	v_add_u32_e32 v23, 32, v23
	v_min_u32_e32 v23, v29, v23
	v_lshlrev_b64 v[20:21], v23, v[20:21]
	v_cvt_f32_i32_e32 v22, v22
	v_min_u32_e32 v20, 1, v20
	v_or_b32_e32 v29, v21, v20
	v_cvt_f32_u32_e32 v27, v27
	v_sub_u32_e32 v25, 32, v25
	v_ldexp_f32 v22, v22, v25
	v_cvt_f32_i32_e32 v25, v29
	v_mov_b32_e32 v21, s24
	v_add_co_u32_e32 v20, vcc, s25, v0
	v_cvt_f32_u32_e32 v24, v24
	v_addc_co_u32_e32 v21, vcc, v19, v21, vcc
	v_sub_u32_e32 v26, 32, v26
	v_ldexp_f32 v26, v27, v26
	v_sub_u32_e32 v23, 32, v23
	v_cmp_gt_i64_e32 vcc, s[18:19], v[7:8]
	v_sub_u32_e32 v27, 32, v28
	v_ldexp_f32 v23, v25, v23
	v_fma_f32 v25, s39, v26, v18
	v_fma_f32 v22, -s39, v22, v17
	v_ldexp_f32 v24, v24, v27
	v_cndmask_b32_e32 v22, v22, v25, vcc
	v_cmp_gt_i64_e32 vcc, s[20:21], v[9:10]
	v_fma_f32 v24, s40, v24, v18
	v_fma_f32 v23, -s40, v23, v17
	v_cndmask_b32_e32 v23, v23, v24, vcc
	v_cvt_i32_f32_sdwa v23, v23 dst_sel:BYTE_1 dst_unused:UNUSED_PAD src0_sel:DWORD
	v_cvt_i32_f32_e32 v22, v22
	v_or_b32_sdwa v22, v22, v23 dst_sel:DWORD dst_unused:UNUSED_PAD src0_sel:BYTE_0 src1_sel:DWORD
	global_store_byte v[20:21], v22, off
	v_add_co_u32_e32 v20, vcc, s48, v0
	v_mov_b32_e32 v21, s47
	v_addc_co_u32_e32 v21, vcc, v19, v21, vcc
	v_add_co_u32_e32 v0, vcc, s22, v0
	v_mov_b32_e32 v23, s23
	v_addc_co_u32_e32 v19, vcc, v19, v23, vcc
	;; [unrolled: 3-line block ×6, first 2 shown]
	v_add_co_u32_e32 v15, vcc, -4, v15
	v_addc_co_u32_e32 v16, vcc, -1, v16, vcc
	v_cmp_eq_u64_e32 vcc, 0, v[15:16]
	v_lshrrev_b32_e32 v22, 8, v22
	s_or_b64 s[6:7], vcc, s[6:7]
	global_store_byte v[20:21], v22, off
	s_andn2_b64 exec, exec, s[6:7]
	s_cbranch_execnz .LBB3_7
; %bb.8:
	s_or_b64 exec, exec, s[6:7]
	v_mad_u64_u32 v[1:2], s[6:7], v13, s10, v[1:2]
	v_mul_lo_u32 v0, v13, s11
	v_mul_lo_u32 v3, v14, s10
	v_cmp_ne_u64_e32 vcc, v[11:12], v[13:14]
	s_orn2_b64 s[14:15], vcc, exec
	v_add3_u32 v2, v3, v2, v0
.LBB3_9:
	s_or_b64 exec, exec, s[4:5]
	s_and_b64 exec, exec, s[14:15]
	s_cbranch_execz .LBB3_16
; %bb.10:
	v_not_b32_e32 v3, v1
	v_not_b32_e32 v0, v2
	s_waitcnt lgkmcnt(0)
	v_mov_b32_e32 v4, s13
	v_add_co_u32_e32 v3, vcc, s12, v3
	v_addc_co_u32_e32 v4, vcc, v0, v4, vcc
	s_mov_b64 s[4:5], 0
	v_mov_b32_e32 v0, s3
	v_mov_b32_e32 v5, s11
	s_branch .LBB3_12
.LBB3_11:                               ;   in Loop: Header=BB3_12 Depth=1
	s_or_b64 exec, exec, s[6:7]
	v_cvt_i32_f32_e32 v8, v6
	v_add_co_u32_e32 v6, vcc, s2, v1
	v_addc_co_u32_e32 v7, vcc, v0, v2, vcc
	v_add_co_u32_e32 v1, vcc, s10, v1
	v_addc_co_u32_e32 v2, vcc, v2, v5, vcc
	v_cmp_le_i64_e32 vcc, s[8:9], v[1:2]
	global_store_byte v[6:7], v8, off
	s_or_b64 s[4:5], vcc, s[4:5]
	v_subrev_co_u32_e32 v3, vcc, s10, v3
	v_subb_co_u32_e32 v4, vcc, v4, v5, vcc
	s_andn2_b64 exec, exec, s[4:5]
	s_cbranch_execz .LBB3_16
.LBB3_12:                               ; =>This Inner Loop Header: Depth=1
	v_cmp_le_i64_e32 vcc, s[0:1], v[1:2]
                                        ; implicit-def: $vgpr6
	s_and_saveexec_b64 s[6:7], vcc
	s_xor_b64 s[6:7], exec, s[6:7]
	s_cbranch_execz .LBB3_14
; %bb.13:                               ;   in Loop: Header=BB3_12 Depth=1
	v_xor_b32_e32 v7, v3, v4
	v_ffbh_i32_e32 v6, v4
	v_ashrrev_i32_e32 v7, 31, v7
	v_add_u32_e32 v6, -1, v6
	v_add_u32_e32 v7, 32, v7
	v_min_u32_e32 v8, v6, v7
	v_lshlrev_b64 v[6:7], v8, v[3:4]
	v_min_u32_e32 v6, 1, v6
	v_or_b32_e32 v6, v7, v6
	v_cvt_f32_i32_e32 v6, v6
	v_sub_u32_e32 v7, 32, v8
	v_ldexp_f32 v6, v6, v7
	v_fma_f32 v6, -s30, v6, v17
.LBB3_14:                               ;   in Loop: Header=BB3_12 Depth=1
	s_andn2_saveexec_b64 s[6:7], s[6:7]
	s_cbranch_execz .LBB3_11
; %bb.15:                               ;   in Loop: Header=BB3_12 Depth=1
	v_ffbh_u32_e32 v6, v2
	v_min_u32_e32 v8, 32, v6
	v_lshlrev_b64 v[6:7], v8, v[1:2]
	v_min_u32_e32 v6, 1, v6
	v_or_b32_e32 v6, v7, v6
	v_cvt_f32_u32_e32 v6, v6
	v_sub_u32_e32 v7, 32, v8
	v_ldexp_f32 v6, v6, v7
	v_fma_f32 v6, s30, v6, v18
	s_branch .LBB3_11
.LBB3_16:
	s_endpgm
	.section	.rodata,"a",@progbits
	.p2align	6, 0x0
	.amdhsa_kernel _ZN12_GLOBAL__N_141elementwise_kernel_with_index_grid_strideIlZZZN2at6native17linspace_cuda_outERKN3c106ScalarES6_lRNS1_6TensorEENKUlvE_clEvENKUlvE0_clEvEUllE_EEvT_T0_PN15function_traitsISD_E11result_typeE
		.amdhsa_group_segment_fixed_size 0
		.amdhsa_private_segment_fixed_size 0
		.amdhsa_kernarg_size 304
		.amdhsa_user_sgpr_count 6
		.amdhsa_user_sgpr_private_segment_buffer 1
		.amdhsa_user_sgpr_dispatch_ptr 0
		.amdhsa_user_sgpr_queue_ptr 0
		.amdhsa_user_sgpr_kernarg_segment_ptr 1
		.amdhsa_user_sgpr_dispatch_id 0
		.amdhsa_user_sgpr_flat_scratch_init 0
		.amdhsa_user_sgpr_private_segment_size 0
		.amdhsa_uses_dynamic_stack 0
		.amdhsa_system_sgpr_private_segment_wavefront_offset 0
		.amdhsa_system_sgpr_workgroup_id_x 1
		.amdhsa_system_sgpr_workgroup_id_y 0
		.amdhsa_system_sgpr_workgroup_id_z 0
		.amdhsa_system_sgpr_workgroup_info 0
		.amdhsa_system_vgpr_workitem_id 0
		.amdhsa_next_free_vgpr 30
		.amdhsa_next_free_sgpr 50
		.amdhsa_reserve_vcc 1
		.amdhsa_reserve_flat_scratch 0
		.amdhsa_float_round_mode_32 0
		.amdhsa_float_round_mode_16_64 0
		.amdhsa_float_denorm_mode_32 3
		.amdhsa_float_denorm_mode_16_64 3
		.amdhsa_dx10_clamp 1
		.amdhsa_ieee_mode 1
		.amdhsa_fp16_overflow 0
		.amdhsa_exception_fp_ieee_invalid_op 0
		.amdhsa_exception_fp_denorm_src 0
		.amdhsa_exception_fp_ieee_div_zero 0
		.amdhsa_exception_fp_ieee_overflow 0
		.amdhsa_exception_fp_ieee_underflow 0
		.amdhsa_exception_fp_ieee_inexact 0
		.amdhsa_exception_int_div_zero 0
	.end_amdhsa_kernel
	.section	.text._ZN12_GLOBAL__N_141elementwise_kernel_with_index_grid_strideIlZZZN2at6native17linspace_cuda_outERKN3c106ScalarES6_lRNS1_6TensorEENKUlvE_clEvENKUlvE0_clEvEUllE_EEvT_T0_PN15function_traitsISD_E11result_typeE,"axG",@progbits,_ZN12_GLOBAL__N_141elementwise_kernel_with_index_grid_strideIlZZZN2at6native17linspace_cuda_outERKN3c106ScalarES6_lRNS1_6TensorEENKUlvE_clEvENKUlvE0_clEvEUllE_EEvT_T0_PN15function_traitsISD_E11result_typeE,comdat
.Lfunc_end3:
	.size	_ZN12_GLOBAL__N_141elementwise_kernel_with_index_grid_strideIlZZZN2at6native17linspace_cuda_outERKN3c106ScalarES6_lRNS1_6TensorEENKUlvE_clEvENKUlvE0_clEvEUllE_EEvT_T0_PN15function_traitsISD_E11result_typeE, .Lfunc_end3-_ZN12_GLOBAL__N_141elementwise_kernel_with_index_grid_strideIlZZZN2at6native17linspace_cuda_outERKN3c106ScalarES6_lRNS1_6TensorEENKUlvE_clEvENKUlvE0_clEvEUllE_EEvT_T0_PN15function_traitsISD_E11result_typeE
                                        ; -- End function
	.set _ZN12_GLOBAL__N_141elementwise_kernel_with_index_grid_strideIlZZZN2at6native17linspace_cuda_outERKN3c106ScalarES6_lRNS1_6TensorEENKUlvE_clEvENKUlvE0_clEvEUllE_EEvT_T0_PN15function_traitsISD_E11result_typeE.num_vgpr, 30
	.set _ZN12_GLOBAL__N_141elementwise_kernel_with_index_grid_strideIlZZZN2at6native17linspace_cuda_outERKN3c106ScalarES6_lRNS1_6TensorEENKUlvE_clEvENKUlvE0_clEvEUllE_EEvT_T0_PN15function_traitsISD_E11result_typeE.num_agpr, 0
	.set _ZN12_GLOBAL__N_141elementwise_kernel_with_index_grid_strideIlZZZN2at6native17linspace_cuda_outERKN3c106ScalarES6_lRNS1_6TensorEENKUlvE_clEvENKUlvE0_clEvEUllE_EEvT_T0_PN15function_traitsISD_E11result_typeE.numbered_sgpr, 50
	.set _ZN12_GLOBAL__N_141elementwise_kernel_with_index_grid_strideIlZZZN2at6native17linspace_cuda_outERKN3c106ScalarES6_lRNS1_6TensorEENKUlvE_clEvENKUlvE0_clEvEUllE_EEvT_T0_PN15function_traitsISD_E11result_typeE.num_named_barrier, 0
	.set _ZN12_GLOBAL__N_141elementwise_kernel_with_index_grid_strideIlZZZN2at6native17linspace_cuda_outERKN3c106ScalarES6_lRNS1_6TensorEENKUlvE_clEvENKUlvE0_clEvEUllE_EEvT_T0_PN15function_traitsISD_E11result_typeE.private_seg_size, 0
	.set _ZN12_GLOBAL__N_141elementwise_kernel_with_index_grid_strideIlZZZN2at6native17linspace_cuda_outERKN3c106ScalarES6_lRNS1_6TensorEENKUlvE_clEvENKUlvE0_clEvEUllE_EEvT_T0_PN15function_traitsISD_E11result_typeE.uses_vcc, 1
	.set _ZN12_GLOBAL__N_141elementwise_kernel_with_index_grid_strideIlZZZN2at6native17linspace_cuda_outERKN3c106ScalarES6_lRNS1_6TensorEENKUlvE_clEvENKUlvE0_clEvEUllE_EEvT_T0_PN15function_traitsISD_E11result_typeE.uses_flat_scratch, 0
	.set _ZN12_GLOBAL__N_141elementwise_kernel_with_index_grid_strideIlZZZN2at6native17linspace_cuda_outERKN3c106ScalarES6_lRNS1_6TensorEENKUlvE_clEvENKUlvE0_clEvEUllE_EEvT_T0_PN15function_traitsISD_E11result_typeE.has_dyn_sized_stack, 0
	.set _ZN12_GLOBAL__N_141elementwise_kernel_with_index_grid_strideIlZZZN2at6native17linspace_cuda_outERKN3c106ScalarES6_lRNS1_6TensorEENKUlvE_clEvENKUlvE0_clEvEUllE_EEvT_T0_PN15function_traitsISD_E11result_typeE.has_recursion, 0
	.set _ZN12_GLOBAL__N_141elementwise_kernel_with_index_grid_strideIlZZZN2at6native17linspace_cuda_outERKN3c106ScalarES6_lRNS1_6TensorEENKUlvE_clEvENKUlvE0_clEvEUllE_EEvT_T0_PN15function_traitsISD_E11result_typeE.has_indirect_call, 0
	.section	.AMDGPU.csdata,"",@progbits
; Kernel info:
; codeLenInByte = 2312
; TotalNumSgprs: 54
; NumVgprs: 30
; ScratchSize: 0
; MemoryBound: 0
; FloatMode: 240
; IeeeMode: 1
; LDSByteSize: 0 bytes/workgroup (compile time only)
; SGPRBlocks: 6
; VGPRBlocks: 7
; NumSGPRsForWavesPerEU: 54
; NumVGPRsForWavesPerEU: 30
; Occupancy: 8
; WaveLimiterHint : 0
; COMPUTE_PGM_RSRC2:SCRATCH_EN: 0
; COMPUTE_PGM_RSRC2:USER_SGPR: 6
; COMPUTE_PGM_RSRC2:TRAP_HANDLER: 0
; COMPUTE_PGM_RSRC2:TGID_X_EN: 1
; COMPUTE_PGM_RSRC2:TGID_Y_EN: 0
; COMPUTE_PGM_RSRC2:TGID_Z_EN: 0
; COMPUTE_PGM_RSRC2:TIDIG_COMP_CNT: 0
	.section	.text._ZN12_GLOBAL__N_141elementwise_kernel_with_index_grid_strideIiZZZN2at6native17linspace_cuda_outERKN3c106ScalarES6_lRNS1_6TensorEENKUlvE_clEvENKUlvE1_clEvEUllE_EEvT_T0_PN15function_traitsISD_E11result_typeE,"axG",@progbits,_ZN12_GLOBAL__N_141elementwise_kernel_with_index_grid_strideIiZZZN2at6native17linspace_cuda_outERKN3c106ScalarES6_lRNS1_6TensorEENKUlvE_clEvENKUlvE1_clEvEUllE_EEvT_T0_PN15function_traitsISD_E11result_typeE,comdat
	.globl	_ZN12_GLOBAL__N_141elementwise_kernel_with_index_grid_strideIiZZZN2at6native17linspace_cuda_outERKN3c106ScalarES6_lRNS1_6TensorEENKUlvE_clEvENKUlvE1_clEvEUllE_EEvT_T0_PN15function_traitsISD_E11result_typeE ; -- Begin function _ZN12_GLOBAL__N_141elementwise_kernel_with_index_grid_strideIiZZZN2at6native17linspace_cuda_outERKN3c106ScalarES6_lRNS1_6TensorEENKUlvE_clEvENKUlvE1_clEvEUllE_EEvT_T0_PN15function_traitsISD_E11result_typeE
	.p2align	8
	.type	_ZN12_GLOBAL__N_141elementwise_kernel_with_index_grid_strideIiZZZN2at6native17linspace_cuda_outERKN3c106ScalarES6_lRNS1_6TensorEENKUlvE_clEvENKUlvE1_clEvEUllE_EEvT_T0_PN15function_traitsISD_E11result_typeE,@function
_ZN12_GLOBAL__N_141elementwise_kernel_with_index_grid_strideIiZZZN2at6native17linspace_cuda_outERKN3c106ScalarES6_lRNS1_6TensorEENKUlvE_clEvENKUlvE1_clEvEUllE_EEvT_T0_PN15function_traitsISD_E11result_typeE: ; @_ZN12_GLOBAL__N_141elementwise_kernel_with_index_grid_strideIiZZZN2at6native17linspace_cuda_outERKN3c106ScalarES6_lRNS1_6TensorEENKUlvE_clEvENKUlvE1_clEvEUllE_EEvT_T0_PN15function_traitsISD_E11result_typeE
; %bb.0:
	s_load_dword s0, s[4:5], 0x3c
	s_load_dword s10, s[4:5], 0x0
	s_add_u32 s8, s4, 48
	s_addc_u32 s9, s5, 0
	s_waitcnt lgkmcnt(0)
	s_and_b32 s7, s0, 0xffff
	s_mul_i32 s6, s6, s7
	v_add_u32_e32 v0, s6, v0
	v_cmp_gt_i32_e32 vcc, s10, v0
	s_and_saveexec_b64 s[0:1], vcc
	s_cbranch_execz .LBB4_7
; %bb.1:
	s_load_dword s6, s[8:9], 0x0
	s_load_dwordx4 s[12:15], s[4:5], 0x8
	s_load_dword s11, s[4:5], 0x18
	s_load_dwordx4 s[0:3], s[4:5], 0x20
	v_ashrrev_i32_e32 v1, 31, v0
	v_not_b32_e32 v2, v0
	v_not_b32_e32 v3, v1
	s_waitcnt lgkmcnt(0)
	v_mov_b32_e32 v4, s15
	v_add_co_u32_e32 v2, vcc, s14, v2
	s_mul_i32 s4, s6, s7
	v_cvt_f32_i32_e32 v6, s13
	v_cvt_f32_i32_e32 v7, s12
	v_addc_co_u32_e32 v3, vcc, v3, v4, vcc
	v_lshlrev_b64 v[4:5], 2, v[0:1]
	s_ashr_i32 s5, s4, 31
	v_mov_b32_e32 v8, s3
	v_add_co_u32_e32 v4, vcc, s2, v4
	s_lshl_b64 s[2:3], s[4:5], 2
	v_addc_co_u32_e32 v5, vcc, v8, v5, vcc
	s_mov_b64 s[6:7], 0
	v_mov_b32_e32 v8, s5
	v_mov_b32_e32 v9, s3
	s_branch .LBB4_3
.LBB4_2:                                ;   in Loop: Header=BB4_3 Depth=1
	s_or_b64 exec, exec, s[8:9]
	v_add_co_u32_e32 v0, vcc, s4, v0
	v_cvt_i32_f32_e32 v10, v10
	v_addc_co_u32_e32 v1, vcc, v1, v8, vcc
	v_subrev_co_u32_e32 v2, vcc, s4, v2
	v_subb_co_u32_e32 v3, vcc, v3, v8, vcc
	v_cmp_le_i32_e32 vcc, s10, v0
	global_store_dword v[4:5], v10, off
	s_or_b64 s[6:7], vcc, s[6:7]
	v_add_co_u32_e32 v4, vcc, s2, v4
	v_addc_co_u32_e32 v5, vcc, v5, v9, vcc
	s_andn2_b64 exec, exec, s[6:7]
	s_cbranch_execz .LBB4_7
.LBB4_3:                                ; =>This Inner Loop Header: Depth=1
	v_cmp_le_i64_e32 vcc, s[0:1], v[0:1]
                                        ; implicit-def: $vgpr10
	s_and_saveexec_b64 s[8:9], vcc
	s_xor_b64 s[8:9], exec, s[8:9]
	s_cbranch_execz .LBB4_5
; %bb.4:                                ;   in Loop: Header=BB4_3 Depth=1
	v_xor_b32_e32 v11, v2, v3
	v_ffbh_i32_e32 v10, v3
	v_ashrrev_i32_e32 v11, 31, v11
	v_add_u32_e32 v10, -1, v10
	v_add_u32_e32 v11, 32, v11
	v_min_u32_e32 v12, v10, v11
	v_lshlrev_b64 v[10:11], v12, v[2:3]
	v_min_u32_e32 v10, 1, v10
	v_or_b32_e32 v10, v11, v10
	v_cvt_f32_i32_e32 v10, v10
	v_sub_u32_e32 v11, 32, v12
	v_ldexp_f32 v10, v10, v11
	v_fma_f32 v10, -s11, v10, v6
.LBB4_5:                                ;   in Loop: Header=BB4_3 Depth=1
	s_andn2_saveexec_b64 s[8:9], s[8:9]
	s_cbranch_execz .LBB4_2
; %bb.6:                                ;   in Loop: Header=BB4_3 Depth=1
	v_cvt_f32_i32_e32 v10, v0
	v_fma_f32 v10, s11, v10, v7
	s_branch .LBB4_2
.LBB4_7:
	s_endpgm
	.section	.rodata,"a",@progbits
	.p2align	6, 0x0
	.amdhsa_kernel _ZN12_GLOBAL__N_141elementwise_kernel_with_index_grid_strideIiZZZN2at6native17linspace_cuda_outERKN3c106ScalarES6_lRNS1_6TensorEENKUlvE_clEvENKUlvE1_clEvEUllE_EEvT_T0_PN15function_traitsISD_E11result_typeE
		.amdhsa_group_segment_fixed_size 0
		.amdhsa_private_segment_fixed_size 0
		.amdhsa_kernarg_size 304
		.amdhsa_user_sgpr_count 6
		.amdhsa_user_sgpr_private_segment_buffer 1
		.amdhsa_user_sgpr_dispatch_ptr 0
		.amdhsa_user_sgpr_queue_ptr 0
		.amdhsa_user_sgpr_kernarg_segment_ptr 1
		.amdhsa_user_sgpr_dispatch_id 0
		.amdhsa_user_sgpr_flat_scratch_init 0
		.amdhsa_user_sgpr_private_segment_size 0
		.amdhsa_uses_dynamic_stack 0
		.amdhsa_system_sgpr_private_segment_wavefront_offset 0
		.amdhsa_system_sgpr_workgroup_id_x 1
		.amdhsa_system_sgpr_workgroup_id_y 0
		.amdhsa_system_sgpr_workgroup_id_z 0
		.amdhsa_system_sgpr_workgroup_info 0
		.amdhsa_system_vgpr_workitem_id 0
		.amdhsa_next_free_vgpr 13
		.amdhsa_next_free_sgpr 16
		.amdhsa_reserve_vcc 1
		.amdhsa_reserve_flat_scratch 0
		.amdhsa_float_round_mode_32 0
		.amdhsa_float_round_mode_16_64 0
		.amdhsa_float_denorm_mode_32 3
		.amdhsa_float_denorm_mode_16_64 3
		.amdhsa_dx10_clamp 1
		.amdhsa_ieee_mode 1
		.amdhsa_fp16_overflow 0
		.amdhsa_exception_fp_ieee_invalid_op 0
		.amdhsa_exception_fp_denorm_src 0
		.amdhsa_exception_fp_ieee_div_zero 0
		.amdhsa_exception_fp_ieee_overflow 0
		.amdhsa_exception_fp_ieee_underflow 0
		.amdhsa_exception_fp_ieee_inexact 0
		.amdhsa_exception_int_div_zero 0
	.end_amdhsa_kernel
	.section	.text._ZN12_GLOBAL__N_141elementwise_kernel_with_index_grid_strideIiZZZN2at6native17linspace_cuda_outERKN3c106ScalarES6_lRNS1_6TensorEENKUlvE_clEvENKUlvE1_clEvEUllE_EEvT_T0_PN15function_traitsISD_E11result_typeE,"axG",@progbits,_ZN12_GLOBAL__N_141elementwise_kernel_with_index_grid_strideIiZZZN2at6native17linspace_cuda_outERKN3c106ScalarES6_lRNS1_6TensorEENKUlvE_clEvENKUlvE1_clEvEUllE_EEvT_T0_PN15function_traitsISD_E11result_typeE,comdat
.Lfunc_end4:
	.size	_ZN12_GLOBAL__N_141elementwise_kernel_with_index_grid_strideIiZZZN2at6native17linspace_cuda_outERKN3c106ScalarES6_lRNS1_6TensorEENKUlvE_clEvENKUlvE1_clEvEUllE_EEvT_T0_PN15function_traitsISD_E11result_typeE, .Lfunc_end4-_ZN12_GLOBAL__N_141elementwise_kernel_with_index_grid_strideIiZZZN2at6native17linspace_cuda_outERKN3c106ScalarES6_lRNS1_6TensorEENKUlvE_clEvENKUlvE1_clEvEUllE_EEvT_T0_PN15function_traitsISD_E11result_typeE
                                        ; -- End function
	.set _ZN12_GLOBAL__N_141elementwise_kernel_with_index_grid_strideIiZZZN2at6native17linspace_cuda_outERKN3c106ScalarES6_lRNS1_6TensorEENKUlvE_clEvENKUlvE1_clEvEUllE_EEvT_T0_PN15function_traitsISD_E11result_typeE.num_vgpr, 13
	.set _ZN12_GLOBAL__N_141elementwise_kernel_with_index_grid_strideIiZZZN2at6native17linspace_cuda_outERKN3c106ScalarES6_lRNS1_6TensorEENKUlvE_clEvENKUlvE1_clEvEUllE_EEvT_T0_PN15function_traitsISD_E11result_typeE.num_agpr, 0
	.set _ZN12_GLOBAL__N_141elementwise_kernel_with_index_grid_strideIiZZZN2at6native17linspace_cuda_outERKN3c106ScalarES6_lRNS1_6TensorEENKUlvE_clEvENKUlvE1_clEvEUllE_EEvT_T0_PN15function_traitsISD_E11result_typeE.numbered_sgpr, 16
	.set _ZN12_GLOBAL__N_141elementwise_kernel_with_index_grid_strideIiZZZN2at6native17linspace_cuda_outERKN3c106ScalarES6_lRNS1_6TensorEENKUlvE_clEvENKUlvE1_clEvEUllE_EEvT_T0_PN15function_traitsISD_E11result_typeE.num_named_barrier, 0
	.set _ZN12_GLOBAL__N_141elementwise_kernel_with_index_grid_strideIiZZZN2at6native17linspace_cuda_outERKN3c106ScalarES6_lRNS1_6TensorEENKUlvE_clEvENKUlvE1_clEvEUllE_EEvT_T0_PN15function_traitsISD_E11result_typeE.private_seg_size, 0
	.set _ZN12_GLOBAL__N_141elementwise_kernel_with_index_grid_strideIiZZZN2at6native17linspace_cuda_outERKN3c106ScalarES6_lRNS1_6TensorEENKUlvE_clEvENKUlvE1_clEvEUllE_EEvT_T0_PN15function_traitsISD_E11result_typeE.uses_vcc, 1
	.set _ZN12_GLOBAL__N_141elementwise_kernel_with_index_grid_strideIiZZZN2at6native17linspace_cuda_outERKN3c106ScalarES6_lRNS1_6TensorEENKUlvE_clEvENKUlvE1_clEvEUllE_EEvT_T0_PN15function_traitsISD_E11result_typeE.uses_flat_scratch, 0
	.set _ZN12_GLOBAL__N_141elementwise_kernel_with_index_grid_strideIiZZZN2at6native17linspace_cuda_outERKN3c106ScalarES6_lRNS1_6TensorEENKUlvE_clEvENKUlvE1_clEvEUllE_EEvT_T0_PN15function_traitsISD_E11result_typeE.has_dyn_sized_stack, 0
	.set _ZN12_GLOBAL__N_141elementwise_kernel_with_index_grid_strideIiZZZN2at6native17linspace_cuda_outERKN3c106ScalarES6_lRNS1_6TensorEENKUlvE_clEvENKUlvE1_clEvEUllE_EEvT_T0_PN15function_traitsISD_E11result_typeE.has_recursion, 0
	.set _ZN12_GLOBAL__N_141elementwise_kernel_with_index_grid_strideIiZZZN2at6native17linspace_cuda_outERKN3c106ScalarES6_lRNS1_6TensorEENKUlvE_clEvENKUlvE1_clEvEUllE_EEvT_T0_PN15function_traitsISD_E11result_typeE.has_indirect_call, 0
	.section	.AMDGPU.csdata,"",@progbits
; Kernel info:
; codeLenInByte = 336
; TotalNumSgprs: 20
; NumVgprs: 13
; ScratchSize: 0
; MemoryBound: 0
; FloatMode: 240
; IeeeMode: 1
; LDSByteSize: 0 bytes/workgroup (compile time only)
; SGPRBlocks: 2
; VGPRBlocks: 3
; NumSGPRsForWavesPerEU: 20
; NumVGPRsForWavesPerEU: 13
; Occupancy: 10
; WaveLimiterHint : 0
; COMPUTE_PGM_RSRC2:SCRATCH_EN: 0
; COMPUTE_PGM_RSRC2:USER_SGPR: 6
; COMPUTE_PGM_RSRC2:TRAP_HANDLER: 0
; COMPUTE_PGM_RSRC2:TGID_X_EN: 1
; COMPUTE_PGM_RSRC2:TGID_Y_EN: 0
; COMPUTE_PGM_RSRC2:TGID_Z_EN: 0
; COMPUTE_PGM_RSRC2:TIDIG_COMP_CNT: 0
	.section	.text._ZN12_GLOBAL__N_141elementwise_kernel_with_index_grid_strideIlZZZN2at6native17linspace_cuda_outERKN3c106ScalarES6_lRNS1_6TensorEENKUlvE_clEvENKUlvE1_clEvEUllE_EEvT_T0_PN15function_traitsISD_E11result_typeE,"axG",@progbits,_ZN12_GLOBAL__N_141elementwise_kernel_with_index_grid_strideIlZZZN2at6native17linspace_cuda_outERKN3c106ScalarES6_lRNS1_6TensorEENKUlvE_clEvENKUlvE1_clEvEUllE_EEvT_T0_PN15function_traitsISD_E11result_typeE,comdat
	.globl	_ZN12_GLOBAL__N_141elementwise_kernel_with_index_grid_strideIlZZZN2at6native17linspace_cuda_outERKN3c106ScalarES6_lRNS1_6TensorEENKUlvE_clEvENKUlvE1_clEvEUllE_EEvT_T0_PN15function_traitsISD_E11result_typeE ; -- Begin function _ZN12_GLOBAL__N_141elementwise_kernel_with_index_grid_strideIlZZZN2at6native17linspace_cuda_outERKN3c106ScalarES6_lRNS1_6TensorEENKUlvE_clEvENKUlvE1_clEvEUllE_EEvT_T0_PN15function_traitsISD_E11result_typeE
	.p2align	8
	.type	_ZN12_GLOBAL__N_141elementwise_kernel_with_index_grid_strideIlZZZN2at6native17linspace_cuda_outERKN3c106ScalarES6_lRNS1_6TensorEENKUlvE_clEvENKUlvE1_clEvEUllE_EEvT_T0_PN15function_traitsISD_E11result_typeE,@function
_ZN12_GLOBAL__N_141elementwise_kernel_with_index_grid_strideIlZZZN2at6native17linspace_cuda_outERKN3c106ScalarES6_lRNS1_6TensorEENKUlvE_clEvENKUlvE1_clEvEUllE_EEvT_T0_PN15function_traitsISD_E11result_typeE: ; @_ZN12_GLOBAL__N_141elementwise_kernel_with_index_grid_strideIlZZZN2at6native17linspace_cuda_outERKN3c106ScalarES6_lRNS1_6TensorEENKUlvE_clEvENKUlvE1_clEvEUllE_EEvT_T0_PN15function_traitsISD_E11result_typeE
; %bb.0:
	s_load_dword s7, s[4:5], 0x3c
	s_load_dwordx2 s[2:3], s[4:5], 0x0
	s_add_u32 s0, s4, 48
	s_addc_u32 s1, s5, 0
	v_mov_b32_e32 v1, 0
	s_waitcnt lgkmcnt(0)
	s_and_b32 s7, s7, 0xffff
	v_mov_b32_e32 v2, s6
	v_mad_u64_u32 v[0:1], s[8:9], s7, v2, v[0:1]
	v_cmp_gt_i64_e32 vcc, s[2:3], v[0:1]
	s_and_saveexec_b64 s[8:9], vcc
	s_cbranch_execz .LBB5_7
; %bb.1:
	s_load_dword s6, s[0:1], 0x0
	s_load_dwordx4 s[16:19], s[4:5], 0x8
	s_load_dword s12, s[4:5], 0x18
	s_load_dwordx4 s[8:11], s[4:5], 0x20
	v_not_b32_e32 v2, v0
	v_not_b32_e32 v3, v1
	s_waitcnt lgkmcnt(0)
	v_mov_b32_e32 v4, s19
	v_add_co_u32_e32 v2, vcc, s18, v2
	v_cvt_f32_i32_e32 v6, s17
	v_cvt_f32_i32_e32 v7, s16
	v_addc_co_u32_e32 v3, vcc, v3, v4, vcc
	v_lshlrev_b64 v[4:5], 2, v[0:1]
	s_mul_hi_u32 s5, s7, s6
	s_mul_i32 s4, s7, s6
	v_mov_b32_e32 v8, s11
	v_add_co_u32_e32 v4, vcc, s10, v4
	s_lshl_b64 s[6:7], s[4:5], 2
	v_addc_co_u32_e32 v5, vcc, v8, v5, vcc
	s_mov_b64 s[10:11], 0
	v_mov_b32_e32 v8, s5
	v_mov_b32_e32 v9, s7
	s_branch .LBB5_3
.LBB5_2:                                ;   in Loop: Header=BB5_3 Depth=1
	s_or_b64 exec, exec, s[0:1]
	v_cvt_i32_f32_e32 v10, v10
	v_add_co_u32_e32 v0, vcc, s4, v0
	v_addc_co_u32_e32 v1, vcc, v1, v8, vcc
	v_cmp_le_i64_e32 vcc, s[2:3], v[0:1]
	global_store_dword v[4:5], v10, off
	v_subrev_co_u32_e64 v2, s[0:1], s4, v2
	s_or_b64 s[10:11], vcc, s[10:11]
	v_add_co_u32_e32 v4, vcc, s6, v4
	v_subb_co_u32_e64 v3, s[0:1], v3, v8, s[0:1]
	v_addc_co_u32_e32 v5, vcc, v5, v9, vcc
	s_andn2_b64 exec, exec, s[10:11]
	s_cbranch_execz .LBB5_7
.LBB5_3:                                ; =>This Inner Loop Header: Depth=1
	v_cmp_le_i64_e32 vcc, s[8:9], v[0:1]
                                        ; implicit-def: $vgpr10
	s_and_saveexec_b64 s[0:1], vcc
	s_xor_b64 s[0:1], exec, s[0:1]
	s_cbranch_execz .LBB5_5
; %bb.4:                                ;   in Loop: Header=BB5_3 Depth=1
	v_xor_b32_e32 v11, v2, v3
	v_ffbh_i32_e32 v10, v3
	v_ashrrev_i32_e32 v11, 31, v11
	v_add_u32_e32 v10, -1, v10
	v_add_u32_e32 v11, 32, v11
	v_min_u32_e32 v12, v10, v11
	v_lshlrev_b64 v[10:11], v12, v[2:3]
	v_min_u32_e32 v10, 1, v10
	v_or_b32_e32 v10, v11, v10
	v_cvt_f32_i32_e32 v10, v10
	v_sub_u32_e32 v11, 32, v12
	v_ldexp_f32 v10, v10, v11
	v_fma_f32 v10, -s12, v10, v6
.LBB5_5:                                ;   in Loop: Header=BB5_3 Depth=1
	s_andn2_saveexec_b64 s[0:1], s[0:1]
	s_cbranch_execz .LBB5_2
; %bb.6:                                ;   in Loop: Header=BB5_3 Depth=1
	v_ffbh_u32_e32 v10, v1
	v_min_u32_e32 v12, 32, v10
	v_lshlrev_b64 v[10:11], v12, v[0:1]
	v_min_u32_e32 v10, 1, v10
	v_or_b32_e32 v10, v11, v10
	v_cvt_f32_u32_e32 v10, v10
	v_sub_u32_e32 v11, 32, v12
	v_ldexp_f32 v10, v10, v11
	v_fma_f32 v10, s12, v10, v7
	s_branch .LBB5_2
.LBB5_7:
	s_endpgm
	.section	.rodata,"a",@progbits
	.p2align	6, 0x0
	.amdhsa_kernel _ZN12_GLOBAL__N_141elementwise_kernel_with_index_grid_strideIlZZZN2at6native17linspace_cuda_outERKN3c106ScalarES6_lRNS1_6TensorEENKUlvE_clEvENKUlvE1_clEvEUllE_EEvT_T0_PN15function_traitsISD_E11result_typeE
		.amdhsa_group_segment_fixed_size 0
		.amdhsa_private_segment_fixed_size 0
		.amdhsa_kernarg_size 304
		.amdhsa_user_sgpr_count 6
		.amdhsa_user_sgpr_private_segment_buffer 1
		.amdhsa_user_sgpr_dispatch_ptr 0
		.amdhsa_user_sgpr_queue_ptr 0
		.amdhsa_user_sgpr_kernarg_segment_ptr 1
		.amdhsa_user_sgpr_dispatch_id 0
		.amdhsa_user_sgpr_flat_scratch_init 0
		.amdhsa_user_sgpr_private_segment_size 0
		.amdhsa_uses_dynamic_stack 0
		.amdhsa_system_sgpr_private_segment_wavefront_offset 0
		.amdhsa_system_sgpr_workgroup_id_x 1
		.amdhsa_system_sgpr_workgroup_id_y 0
		.amdhsa_system_sgpr_workgroup_id_z 0
		.amdhsa_system_sgpr_workgroup_info 0
		.amdhsa_system_vgpr_workitem_id 0
		.amdhsa_next_free_vgpr 13
		.amdhsa_next_free_sgpr 20
		.amdhsa_reserve_vcc 1
		.amdhsa_reserve_flat_scratch 0
		.amdhsa_float_round_mode_32 0
		.amdhsa_float_round_mode_16_64 0
		.amdhsa_float_denorm_mode_32 3
		.amdhsa_float_denorm_mode_16_64 3
		.amdhsa_dx10_clamp 1
		.amdhsa_ieee_mode 1
		.amdhsa_fp16_overflow 0
		.amdhsa_exception_fp_ieee_invalid_op 0
		.amdhsa_exception_fp_denorm_src 0
		.amdhsa_exception_fp_ieee_div_zero 0
		.amdhsa_exception_fp_ieee_overflow 0
		.amdhsa_exception_fp_ieee_underflow 0
		.amdhsa_exception_fp_ieee_inexact 0
		.amdhsa_exception_int_div_zero 0
	.end_amdhsa_kernel
	.section	.text._ZN12_GLOBAL__N_141elementwise_kernel_with_index_grid_strideIlZZZN2at6native17linspace_cuda_outERKN3c106ScalarES6_lRNS1_6TensorEENKUlvE_clEvENKUlvE1_clEvEUllE_EEvT_T0_PN15function_traitsISD_E11result_typeE,"axG",@progbits,_ZN12_GLOBAL__N_141elementwise_kernel_with_index_grid_strideIlZZZN2at6native17linspace_cuda_outERKN3c106ScalarES6_lRNS1_6TensorEENKUlvE_clEvENKUlvE1_clEvEUllE_EEvT_T0_PN15function_traitsISD_E11result_typeE,comdat
.Lfunc_end5:
	.size	_ZN12_GLOBAL__N_141elementwise_kernel_with_index_grid_strideIlZZZN2at6native17linspace_cuda_outERKN3c106ScalarES6_lRNS1_6TensorEENKUlvE_clEvENKUlvE1_clEvEUllE_EEvT_T0_PN15function_traitsISD_E11result_typeE, .Lfunc_end5-_ZN12_GLOBAL__N_141elementwise_kernel_with_index_grid_strideIlZZZN2at6native17linspace_cuda_outERKN3c106ScalarES6_lRNS1_6TensorEENKUlvE_clEvENKUlvE1_clEvEUllE_EEvT_T0_PN15function_traitsISD_E11result_typeE
                                        ; -- End function
	.set _ZN12_GLOBAL__N_141elementwise_kernel_with_index_grid_strideIlZZZN2at6native17linspace_cuda_outERKN3c106ScalarES6_lRNS1_6TensorEENKUlvE_clEvENKUlvE1_clEvEUllE_EEvT_T0_PN15function_traitsISD_E11result_typeE.num_vgpr, 13
	.set _ZN12_GLOBAL__N_141elementwise_kernel_with_index_grid_strideIlZZZN2at6native17linspace_cuda_outERKN3c106ScalarES6_lRNS1_6TensorEENKUlvE_clEvENKUlvE1_clEvEUllE_EEvT_T0_PN15function_traitsISD_E11result_typeE.num_agpr, 0
	.set _ZN12_GLOBAL__N_141elementwise_kernel_with_index_grid_strideIlZZZN2at6native17linspace_cuda_outERKN3c106ScalarES6_lRNS1_6TensorEENKUlvE_clEvENKUlvE1_clEvEUllE_EEvT_T0_PN15function_traitsISD_E11result_typeE.numbered_sgpr, 20
	.set _ZN12_GLOBAL__N_141elementwise_kernel_with_index_grid_strideIlZZZN2at6native17linspace_cuda_outERKN3c106ScalarES6_lRNS1_6TensorEENKUlvE_clEvENKUlvE1_clEvEUllE_EEvT_T0_PN15function_traitsISD_E11result_typeE.num_named_barrier, 0
	.set _ZN12_GLOBAL__N_141elementwise_kernel_with_index_grid_strideIlZZZN2at6native17linspace_cuda_outERKN3c106ScalarES6_lRNS1_6TensorEENKUlvE_clEvENKUlvE1_clEvEUllE_EEvT_T0_PN15function_traitsISD_E11result_typeE.private_seg_size, 0
	.set _ZN12_GLOBAL__N_141elementwise_kernel_with_index_grid_strideIlZZZN2at6native17linspace_cuda_outERKN3c106ScalarES6_lRNS1_6TensorEENKUlvE_clEvENKUlvE1_clEvEUllE_EEvT_T0_PN15function_traitsISD_E11result_typeE.uses_vcc, 1
	.set _ZN12_GLOBAL__N_141elementwise_kernel_with_index_grid_strideIlZZZN2at6native17linspace_cuda_outERKN3c106ScalarES6_lRNS1_6TensorEENKUlvE_clEvENKUlvE1_clEvEUllE_EEvT_T0_PN15function_traitsISD_E11result_typeE.uses_flat_scratch, 0
	.set _ZN12_GLOBAL__N_141elementwise_kernel_with_index_grid_strideIlZZZN2at6native17linspace_cuda_outERKN3c106ScalarES6_lRNS1_6TensorEENKUlvE_clEvENKUlvE1_clEvEUllE_EEvT_T0_PN15function_traitsISD_E11result_typeE.has_dyn_sized_stack, 0
	.set _ZN12_GLOBAL__N_141elementwise_kernel_with_index_grid_strideIlZZZN2at6native17linspace_cuda_outERKN3c106ScalarES6_lRNS1_6TensorEENKUlvE_clEvENKUlvE1_clEvEUllE_EEvT_T0_PN15function_traitsISD_E11result_typeE.has_recursion, 0
	.set _ZN12_GLOBAL__N_141elementwise_kernel_with_index_grid_strideIlZZZN2at6native17linspace_cuda_outERKN3c106ScalarES6_lRNS1_6TensorEENKUlvE_clEvENKUlvE1_clEvEUllE_EEvT_T0_PN15function_traitsISD_E11result_typeE.has_indirect_call, 0
	.section	.AMDGPU.csdata,"",@progbits
; Kernel info:
; codeLenInByte = 384
; TotalNumSgprs: 24
; NumVgprs: 13
; ScratchSize: 0
; MemoryBound: 0
; FloatMode: 240
; IeeeMode: 1
; LDSByteSize: 0 bytes/workgroup (compile time only)
; SGPRBlocks: 2
; VGPRBlocks: 3
; NumSGPRsForWavesPerEU: 24
; NumVGPRsForWavesPerEU: 13
; Occupancy: 10
; WaveLimiterHint : 0
; COMPUTE_PGM_RSRC2:SCRATCH_EN: 0
; COMPUTE_PGM_RSRC2:USER_SGPR: 6
; COMPUTE_PGM_RSRC2:TRAP_HANDLER: 0
; COMPUTE_PGM_RSRC2:TGID_X_EN: 1
; COMPUTE_PGM_RSRC2:TGID_Y_EN: 0
; COMPUTE_PGM_RSRC2:TGID_Z_EN: 0
; COMPUTE_PGM_RSRC2:TIDIG_COMP_CNT: 0
	.section	.text._ZN12_GLOBAL__N_141elementwise_kernel_with_index_grid_strideIiZZZN2at6native17linspace_cuda_outERKN3c106ScalarES6_lRNS1_6TensorEENKUlvE_clEvENKUlvE2_clEvEUllE_EEvT_T0_PN15function_traitsISD_E11result_typeE,"axG",@progbits,_ZN12_GLOBAL__N_141elementwise_kernel_with_index_grid_strideIiZZZN2at6native17linspace_cuda_outERKN3c106ScalarES6_lRNS1_6TensorEENKUlvE_clEvENKUlvE2_clEvEUllE_EEvT_T0_PN15function_traitsISD_E11result_typeE,comdat
	.globl	_ZN12_GLOBAL__N_141elementwise_kernel_with_index_grid_strideIiZZZN2at6native17linspace_cuda_outERKN3c106ScalarES6_lRNS1_6TensorEENKUlvE_clEvENKUlvE2_clEvEUllE_EEvT_T0_PN15function_traitsISD_E11result_typeE ; -- Begin function _ZN12_GLOBAL__N_141elementwise_kernel_with_index_grid_strideIiZZZN2at6native17linspace_cuda_outERKN3c106ScalarES6_lRNS1_6TensorEENKUlvE_clEvENKUlvE2_clEvEUllE_EEvT_T0_PN15function_traitsISD_E11result_typeE
	.p2align	8
	.type	_ZN12_GLOBAL__N_141elementwise_kernel_with_index_grid_strideIiZZZN2at6native17linspace_cuda_outERKN3c106ScalarES6_lRNS1_6TensorEENKUlvE_clEvENKUlvE2_clEvEUllE_EEvT_T0_PN15function_traitsISD_E11result_typeE,@function
_ZN12_GLOBAL__N_141elementwise_kernel_with_index_grid_strideIiZZZN2at6native17linspace_cuda_outERKN3c106ScalarES6_lRNS1_6TensorEENKUlvE_clEvENKUlvE2_clEvEUllE_EEvT_T0_PN15function_traitsISD_E11result_typeE: ; @_ZN12_GLOBAL__N_141elementwise_kernel_with_index_grid_strideIiZZZN2at6native17linspace_cuda_outERKN3c106ScalarES6_lRNS1_6TensorEENKUlvE_clEvENKUlvE2_clEvEUllE_EEvT_T0_PN15function_traitsISD_E11result_typeE
; %bb.0:
	s_load_dword s0, s[4:5], 0x44
	s_load_dword s10, s[4:5], 0x0
	s_add_u32 s8, s4, 56
	s_addc_u32 s9, s5, 0
	s_waitcnt lgkmcnt(0)
	s_and_b32 s7, s0, 0xffff
	s_mul_i32 s6, s6, s7
	v_add_u32_e32 v0, s6, v0
	v_cmp_gt_i32_e32 vcc, s10, v0
	s_and_saveexec_b64 s[0:1], vcc
	s_cbranch_execz .LBB6_7
; %bb.1:
	s_load_dword s6, s[8:9], 0x0
	s_load_dwordx4 s[12:15], s[4:5], 0x8
	s_load_dwordx2 s[16:17], s[4:5], 0x18
	s_load_dword s11, s[4:5], 0x20
	s_load_dwordx4 s[0:3], s[4:5], 0x28
	s_waitcnt lgkmcnt(0)
	s_mul_i32 s4, s6, s7
	s_xor_b32 s6, s14, s15
	s_flbit_i32 s5, s15
	s_ashr_i32 s6, s6, 31
	s_add_i32 s5, s5, -1
	s_add_i32 s6, s6, 32
	s_min_u32 s5, s5, s6
	s_lshl_b64 s[6:7], s[14:15], s5
	s_min_u32 s6, s6, 1
	s_or_b32 s6, s7, s6
	s_xor_b32 s7, s12, s13
	v_cvt_f32_i32_e32 v1, s6
	s_flbit_i32 s6, s13
	s_ashr_i32 s7, s7, 31
	s_add_i32 s6, s6, -1
	s_add_i32 s7, s7, 32
	s_min_u32 s8, s6, s7
	s_lshl_b64 s[6:7], s[12:13], s8
	s_min_u32 s6, s6, 1
	s_or_b32 s6, s7, s6
	v_cvt_f32_i32_e32 v2, s6
	s_sub_i32 s5, 32, s5
	v_ldexp_f32 v6, v1, s5
	s_sub_i32 s5, 32, s8
	v_ldexp_f32 v7, v2, s5
	v_ashrrev_i32_e32 v1, 31, v0
	v_not_b32_e32 v2, v0
	v_not_b32_e32 v3, v1
	v_mov_b32_e32 v4, s17
	v_add_co_u32_e32 v2, vcc, s16, v2
	v_addc_co_u32_e32 v3, vcc, v3, v4, vcc
	v_lshlrev_b64 v[4:5], 3, v[0:1]
	s_ashr_i32 s5, s4, 31
	v_mov_b32_e32 v8, s3
	v_add_co_u32_e32 v4, vcc, s2, v4
	s_lshl_b64 s[2:3], s[4:5], 3
	v_addc_co_u32_e32 v5, vcc, v8, v5, vcc
	s_mov_b64 s[6:7], 0
	s_mov_b32 s12, 0x2f800000
	s_mov_b32 s13, 0xcf800000
	v_mov_b32_e32 v8, s5
	v_mov_b32_e32 v9, s3
	s_branch .LBB6_3
.LBB6_2:                                ;   in Loop: Header=BB6_3 Depth=1
	s_or_b64 exec, exec, s[8:9]
	v_trunc_f32_e32 v10, v10
	v_mul_f32_e64 v11, |v10|, s12
	v_floor_f32_e32 v11, v11
	v_cvt_u32_f32_e32 v12, v11
	v_fma_f32 v11, v11, s13, |v10|
	v_cvt_u32_f32_e32 v11, v11
	v_ashrrev_i32_e32 v13, 31, v10
	v_xor_b32_e32 v12, v12, v13
	v_xor_b32_e32 v10, v11, v13
	v_sub_co_u32_e32 v10, vcc, v10, v13
	v_subb_co_u32_e32 v11, vcc, v12, v13, vcc
	v_add_co_u32_e32 v0, vcc, s4, v0
	v_addc_co_u32_e32 v1, vcc, v1, v8, vcc
	v_subrev_co_u32_e32 v2, vcc, s4, v2
	v_subb_co_u32_e32 v3, vcc, v3, v8, vcc
	v_cmp_le_i32_e32 vcc, s10, v0
	global_store_dwordx2 v[4:5], v[10:11], off
	s_or_b64 s[6:7], vcc, s[6:7]
	v_add_co_u32_e32 v4, vcc, s2, v4
	v_addc_co_u32_e32 v5, vcc, v5, v9, vcc
	s_andn2_b64 exec, exec, s[6:7]
	s_cbranch_execz .LBB6_7
.LBB6_3:                                ; =>This Inner Loop Header: Depth=1
	v_cmp_le_i64_e32 vcc, s[0:1], v[0:1]
                                        ; implicit-def: $vgpr10
	s_and_saveexec_b64 s[8:9], vcc
	s_xor_b64 s[8:9], exec, s[8:9]
	s_cbranch_execz .LBB6_5
; %bb.4:                                ;   in Loop: Header=BB6_3 Depth=1
	v_xor_b32_e32 v11, v2, v3
	v_ffbh_i32_e32 v10, v3
	v_ashrrev_i32_e32 v11, 31, v11
	v_add_u32_e32 v10, -1, v10
	v_add_u32_e32 v11, 32, v11
	v_min_u32_e32 v12, v10, v11
	v_lshlrev_b64 v[10:11], v12, v[2:3]
	v_min_u32_e32 v10, 1, v10
	v_or_b32_e32 v10, v11, v10
	v_cvt_f32_i32_e32 v10, v10
	v_sub_u32_e32 v11, 32, v12
	v_ldexp_f32 v10, v10, v11
	v_fma_f32 v10, -s11, v10, v6
.LBB6_5:                                ;   in Loop: Header=BB6_3 Depth=1
	s_andn2_saveexec_b64 s[8:9], s[8:9]
	s_cbranch_execz .LBB6_2
; %bb.6:                                ;   in Loop: Header=BB6_3 Depth=1
	v_cvt_f32_i32_e32 v10, v0
	v_fma_f32 v10, s11, v10, v7
	s_branch .LBB6_2
.LBB6_7:
	s_endpgm
	.section	.rodata,"a",@progbits
	.p2align	6, 0x0
	.amdhsa_kernel _ZN12_GLOBAL__N_141elementwise_kernel_with_index_grid_strideIiZZZN2at6native17linspace_cuda_outERKN3c106ScalarES6_lRNS1_6TensorEENKUlvE_clEvENKUlvE2_clEvEUllE_EEvT_T0_PN15function_traitsISD_E11result_typeE
		.amdhsa_group_segment_fixed_size 0
		.amdhsa_private_segment_fixed_size 0
		.amdhsa_kernarg_size 312
		.amdhsa_user_sgpr_count 6
		.amdhsa_user_sgpr_private_segment_buffer 1
		.amdhsa_user_sgpr_dispatch_ptr 0
		.amdhsa_user_sgpr_queue_ptr 0
		.amdhsa_user_sgpr_kernarg_segment_ptr 1
		.amdhsa_user_sgpr_dispatch_id 0
		.amdhsa_user_sgpr_flat_scratch_init 0
		.amdhsa_user_sgpr_private_segment_size 0
		.amdhsa_uses_dynamic_stack 0
		.amdhsa_system_sgpr_private_segment_wavefront_offset 0
		.amdhsa_system_sgpr_workgroup_id_x 1
		.amdhsa_system_sgpr_workgroup_id_y 0
		.amdhsa_system_sgpr_workgroup_id_z 0
		.amdhsa_system_sgpr_workgroup_info 0
		.amdhsa_system_vgpr_workitem_id 0
		.amdhsa_next_free_vgpr 14
		.amdhsa_next_free_sgpr 18
		.amdhsa_reserve_vcc 1
		.amdhsa_reserve_flat_scratch 0
		.amdhsa_float_round_mode_32 0
		.amdhsa_float_round_mode_16_64 0
		.amdhsa_float_denorm_mode_32 3
		.amdhsa_float_denorm_mode_16_64 3
		.amdhsa_dx10_clamp 1
		.amdhsa_ieee_mode 1
		.amdhsa_fp16_overflow 0
		.amdhsa_exception_fp_ieee_invalid_op 0
		.amdhsa_exception_fp_denorm_src 0
		.amdhsa_exception_fp_ieee_div_zero 0
		.amdhsa_exception_fp_ieee_overflow 0
		.amdhsa_exception_fp_ieee_underflow 0
		.amdhsa_exception_fp_ieee_inexact 0
		.amdhsa_exception_int_div_zero 0
	.end_amdhsa_kernel
	.section	.text._ZN12_GLOBAL__N_141elementwise_kernel_with_index_grid_strideIiZZZN2at6native17linspace_cuda_outERKN3c106ScalarES6_lRNS1_6TensorEENKUlvE_clEvENKUlvE2_clEvEUllE_EEvT_T0_PN15function_traitsISD_E11result_typeE,"axG",@progbits,_ZN12_GLOBAL__N_141elementwise_kernel_with_index_grid_strideIiZZZN2at6native17linspace_cuda_outERKN3c106ScalarES6_lRNS1_6TensorEENKUlvE_clEvENKUlvE2_clEvEUllE_EEvT_T0_PN15function_traitsISD_E11result_typeE,comdat
.Lfunc_end6:
	.size	_ZN12_GLOBAL__N_141elementwise_kernel_with_index_grid_strideIiZZZN2at6native17linspace_cuda_outERKN3c106ScalarES6_lRNS1_6TensorEENKUlvE_clEvENKUlvE2_clEvEUllE_EEvT_T0_PN15function_traitsISD_E11result_typeE, .Lfunc_end6-_ZN12_GLOBAL__N_141elementwise_kernel_with_index_grid_strideIiZZZN2at6native17linspace_cuda_outERKN3c106ScalarES6_lRNS1_6TensorEENKUlvE_clEvENKUlvE2_clEvEUllE_EEvT_T0_PN15function_traitsISD_E11result_typeE
                                        ; -- End function
	.set _ZN12_GLOBAL__N_141elementwise_kernel_with_index_grid_strideIiZZZN2at6native17linspace_cuda_outERKN3c106ScalarES6_lRNS1_6TensorEENKUlvE_clEvENKUlvE2_clEvEUllE_EEvT_T0_PN15function_traitsISD_E11result_typeE.num_vgpr, 14
	.set _ZN12_GLOBAL__N_141elementwise_kernel_with_index_grid_strideIiZZZN2at6native17linspace_cuda_outERKN3c106ScalarES6_lRNS1_6TensorEENKUlvE_clEvENKUlvE2_clEvEUllE_EEvT_T0_PN15function_traitsISD_E11result_typeE.num_agpr, 0
	.set _ZN12_GLOBAL__N_141elementwise_kernel_with_index_grid_strideIiZZZN2at6native17linspace_cuda_outERKN3c106ScalarES6_lRNS1_6TensorEENKUlvE_clEvENKUlvE2_clEvEUllE_EEvT_T0_PN15function_traitsISD_E11result_typeE.numbered_sgpr, 18
	.set _ZN12_GLOBAL__N_141elementwise_kernel_with_index_grid_strideIiZZZN2at6native17linspace_cuda_outERKN3c106ScalarES6_lRNS1_6TensorEENKUlvE_clEvENKUlvE2_clEvEUllE_EEvT_T0_PN15function_traitsISD_E11result_typeE.num_named_barrier, 0
	.set _ZN12_GLOBAL__N_141elementwise_kernel_with_index_grid_strideIiZZZN2at6native17linspace_cuda_outERKN3c106ScalarES6_lRNS1_6TensorEENKUlvE_clEvENKUlvE2_clEvEUllE_EEvT_T0_PN15function_traitsISD_E11result_typeE.private_seg_size, 0
	.set _ZN12_GLOBAL__N_141elementwise_kernel_with_index_grid_strideIiZZZN2at6native17linspace_cuda_outERKN3c106ScalarES6_lRNS1_6TensorEENKUlvE_clEvENKUlvE2_clEvEUllE_EEvT_T0_PN15function_traitsISD_E11result_typeE.uses_vcc, 1
	.set _ZN12_GLOBAL__N_141elementwise_kernel_with_index_grid_strideIiZZZN2at6native17linspace_cuda_outERKN3c106ScalarES6_lRNS1_6TensorEENKUlvE_clEvENKUlvE2_clEvEUllE_EEvT_T0_PN15function_traitsISD_E11result_typeE.uses_flat_scratch, 0
	.set _ZN12_GLOBAL__N_141elementwise_kernel_with_index_grid_strideIiZZZN2at6native17linspace_cuda_outERKN3c106ScalarES6_lRNS1_6TensorEENKUlvE_clEvENKUlvE2_clEvEUllE_EEvT_T0_PN15function_traitsISD_E11result_typeE.has_dyn_sized_stack, 0
	.set _ZN12_GLOBAL__N_141elementwise_kernel_with_index_grid_strideIiZZZN2at6native17linspace_cuda_outERKN3c106ScalarES6_lRNS1_6TensorEENKUlvE_clEvENKUlvE2_clEvEUllE_EEvT_T0_PN15function_traitsISD_E11result_typeE.has_recursion, 0
	.set _ZN12_GLOBAL__N_141elementwise_kernel_with_index_grid_strideIiZZZN2at6native17linspace_cuda_outERKN3c106ScalarES6_lRNS1_6TensorEENKUlvE_clEvENKUlvE2_clEvEUllE_EEvT_T0_PN15function_traitsISD_E11result_typeE.has_indirect_call, 0
	.section	.AMDGPU.csdata,"",@progbits
; Kernel info:
; codeLenInByte = 504
; TotalNumSgprs: 22
; NumVgprs: 14
; ScratchSize: 0
; MemoryBound: 0
; FloatMode: 240
; IeeeMode: 1
; LDSByteSize: 0 bytes/workgroup (compile time only)
; SGPRBlocks: 2
; VGPRBlocks: 3
; NumSGPRsForWavesPerEU: 22
; NumVGPRsForWavesPerEU: 14
; Occupancy: 10
; WaveLimiterHint : 0
; COMPUTE_PGM_RSRC2:SCRATCH_EN: 0
; COMPUTE_PGM_RSRC2:USER_SGPR: 6
; COMPUTE_PGM_RSRC2:TRAP_HANDLER: 0
; COMPUTE_PGM_RSRC2:TGID_X_EN: 1
; COMPUTE_PGM_RSRC2:TGID_Y_EN: 0
; COMPUTE_PGM_RSRC2:TGID_Z_EN: 0
; COMPUTE_PGM_RSRC2:TIDIG_COMP_CNT: 0
	.section	.text._ZN12_GLOBAL__N_141elementwise_kernel_with_index_grid_strideIlZZZN2at6native17linspace_cuda_outERKN3c106ScalarES6_lRNS1_6TensorEENKUlvE_clEvENKUlvE2_clEvEUllE_EEvT_T0_PN15function_traitsISD_E11result_typeE,"axG",@progbits,_ZN12_GLOBAL__N_141elementwise_kernel_with_index_grid_strideIlZZZN2at6native17linspace_cuda_outERKN3c106ScalarES6_lRNS1_6TensorEENKUlvE_clEvENKUlvE2_clEvEUllE_EEvT_T0_PN15function_traitsISD_E11result_typeE,comdat
	.globl	_ZN12_GLOBAL__N_141elementwise_kernel_with_index_grid_strideIlZZZN2at6native17linspace_cuda_outERKN3c106ScalarES6_lRNS1_6TensorEENKUlvE_clEvENKUlvE2_clEvEUllE_EEvT_T0_PN15function_traitsISD_E11result_typeE ; -- Begin function _ZN12_GLOBAL__N_141elementwise_kernel_with_index_grid_strideIlZZZN2at6native17linspace_cuda_outERKN3c106ScalarES6_lRNS1_6TensorEENKUlvE_clEvENKUlvE2_clEvEUllE_EEvT_T0_PN15function_traitsISD_E11result_typeE
	.p2align	8
	.type	_ZN12_GLOBAL__N_141elementwise_kernel_with_index_grid_strideIlZZZN2at6native17linspace_cuda_outERKN3c106ScalarES6_lRNS1_6TensorEENKUlvE_clEvENKUlvE2_clEvEUllE_EEvT_T0_PN15function_traitsISD_E11result_typeE,@function
_ZN12_GLOBAL__N_141elementwise_kernel_with_index_grid_strideIlZZZN2at6native17linspace_cuda_outERKN3c106ScalarES6_lRNS1_6TensorEENKUlvE_clEvENKUlvE2_clEvEUllE_EEvT_T0_PN15function_traitsISD_E11result_typeE: ; @_ZN12_GLOBAL__N_141elementwise_kernel_with_index_grid_strideIlZZZN2at6native17linspace_cuda_outERKN3c106ScalarES6_lRNS1_6TensorEENKUlvE_clEvENKUlvE2_clEvEUllE_EEvT_T0_PN15function_traitsISD_E11result_typeE
; %bb.0:
	s_load_dword s7, s[4:5], 0x44
	s_load_dwordx2 s[2:3], s[4:5], 0x0
	s_add_u32 s0, s4, 56
	s_addc_u32 s1, s5, 0
	v_mov_b32_e32 v1, 0
	s_waitcnt lgkmcnt(0)
	s_and_b32 s7, s7, 0xffff
	v_mov_b32_e32 v2, s6
	v_mad_u64_u32 v[0:1], s[8:9], s7, v2, v[0:1]
	v_cmp_gt_i64_e32 vcc, s[2:3], v[0:1]
	s_and_saveexec_b64 s[8:9], vcc
	s_cbranch_execz .LBB7_7
; %bb.1:
	s_load_dword s6, s[0:1], 0x0
	s_load_dwordx4 s[16:19], s[4:5], 0x8
	s_load_dwordx2 s[14:15], s[4:5], 0x18
	s_load_dword s12, s[4:5], 0x20
	s_load_dwordx4 s[8:11], s[4:5], 0x28
	s_waitcnt lgkmcnt(0)
	s_mul_hi_u32 s5, s7, s6
	s_xor_b32 s1, s18, s19
	s_flbit_i32 s0, s19
	s_ashr_i32 s1, s1, 31
	s_add_i32 s0, s0, -1
	s_add_i32 s1, s1, 32
	s_mul_i32 s4, s7, s6
	s_min_u32 s6, s0, s1
	s_lshl_b64 s[0:1], s[18:19], s6
	s_min_u32 s0, s0, 1
	s_or_b32 s0, s1, s0
	s_xor_b32 s1, s16, s17
	v_cvt_f32_i32_e32 v2, s0
	s_flbit_i32 s0, s17
	s_ashr_i32 s1, s1, 31
	s_add_i32 s0, s0, -1
	s_add_i32 s1, s1, 32
	s_min_u32 s7, s0, s1
	s_lshl_b64 s[0:1], s[16:17], s7
	s_min_u32 s0, s0, 1
	s_or_b32 s0, s1, s0
	v_cvt_f32_i32_e32 v3, s0
	s_sub_i32 s0, 32, s6
	v_ldexp_f32 v6, v2, s0
	s_sub_i32 s0, 32, s7
	v_not_b32_e32 v2, v0
	v_ldexp_f32 v7, v3, s0
	v_not_b32_e32 v3, v1
	v_mov_b32_e32 v4, s15
	v_add_co_u32_e32 v2, vcc, s14, v2
	v_addc_co_u32_e32 v3, vcc, v3, v4, vcc
	v_lshlrev_b64 v[4:5], 3, v[0:1]
	v_mov_b32_e32 v8, s11
	v_add_co_u32_e32 v4, vcc, s10, v4
	s_lshl_b64 s[6:7], s[4:5], 3
	v_addc_co_u32_e32 v5, vcc, v8, v5, vcc
	s_mov_b64 s[10:11], 0
	s_mov_b32 s13, 0x2f800000
	s_mov_b32 s14, 0xcf800000
	v_mov_b32_e32 v8, s5
	v_mov_b32_e32 v9, s7
	s_branch .LBB7_3
.LBB7_2:                                ;   in Loop: Header=BB7_3 Depth=1
	s_or_b64 exec, exec, s[0:1]
	v_trunc_f32_e32 v10, v10
	v_mul_f32_e64 v11, |v10|, s13
	v_floor_f32_e32 v11, v11
	v_cvt_u32_f32_e32 v12, v11
	v_fma_f32 v11, v11, s14, |v10|
	v_cvt_u32_f32_e32 v11, v11
	v_ashrrev_i32_e32 v13, 31, v10
	v_xor_b32_e32 v12, v12, v13
	v_subrev_co_u32_e64 v2, s[0:1], s4, v2
	v_xor_b32_e32 v10, v11, v13
	v_sub_co_u32_e32 v10, vcc, v10, v13
	v_subb_co_u32_e32 v11, vcc, v12, v13, vcc
	v_add_co_u32_e32 v0, vcc, s4, v0
	v_addc_co_u32_e32 v1, vcc, v1, v8, vcc
	v_cmp_le_i64_e32 vcc, s[2:3], v[0:1]
	global_store_dwordx2 v[4:5], v[10:11], off
	s_or_b64 s[10:11], vcc, s[10:11]
	v_add_co_u32_e32 v4, vcc, s6, v4
	v_subb_co_u32_e64 v3, s[0:1], v3, v8, s[0:1]
	v_addc_co_u32_e32 v5, vcc, v5, v9, vcc
	s_andn2_b64 exec, exec, s[10:11]
	s_cbranch_execz .LBB7_7
.LBB7_3:                                ; =>This Inner Loop Header: Depth=1
	v_cmp_le_i64_e32 vcc, s[8:9], v[0:1]
                                        ; implicit-def: $vgpr10
	s_and_saveexec_b64 s[0:1], vcc
	s_xor_b64 s[0:1], exec, s[0:1]
	s_cbranch_execz .LBB7_5
; %bb.4:                                ;   in Loop: Header=BB7_3 Depth=1
	v_xor_b32_e32 v11, v2, v3
	v_ffbh_i32_e32 v10, v3
	v_ashrrev_i32_e32 v11, 31, v11
	v_add_u32_e32 v10, -1, v10
	v_add_u32_e32 v11, 32, v11
	v_min_u32_e32 v12, v10, v11
	v_lshlrev_b64 v[10:11], v12, v[2:3]
	v_min_u32_e32 v10, 1, v10
	v_or_b32_e32 v10, v11, v10
	v_cvt_f32_i32_e32 v10, v10
	v_sub_u32_e32 v11, 32, v12
	v_ldexp_f32 v10, v10, v11
	v_fma_f32 v10, -s12, v10, v6
.LBB7_5:                                ;   in Loop: Header=BB7_3 Depth=1
	s_andn2_saveexec_b64 s[0:1], s[0:1]
	s_cbranch_execz .LBB7_2
; %bb.6:                                ;   in Loop: Header=BB7_3 Depth=1
	v_ffbh_u32_e32 v10, v1
	v_min_u32_e32 v12, 32, v10
	v_lshlrev_b64 v[10:11], v12, v[0:1]
	v_min_u32_e32 v10, 1, v10
	v_or_b32_e32 v10, v11, v10
	v_cvt_f32_u32_e32 v10, v10
	v_sub_u32_e32 v11, 32, v12
	v_ldexp_f32 v10, v10, v11
	v_fma_f32 v10, s12, v10, v7
	s_branch .LBB7_2
.LBB7_7:
	s_endpgm
	.section	.rodata,"a",@progbits
	.p2align	6, 0x0
	.amdhsa_kernel _ZN12_GLOBAL__N_141elementwise_kernel_with_index_grid_strideIlZZZN2at6native17linspace_cuda_outERKN3c106ScalarES6_lRNS1_6TensorEENKUlvE_clEvENKUlvE2_clEvEUllE_EEvT_T0_PN15function_traitsISD_E11result_typeE
		.amdhsa_group_segment_fixed_size 0
		.amdhsa_private_segment_fixed_size 0
		.amdhsa_kernarg_size 312
		.amdhsa_user_sgpr_count 6
		.amdhsa_user_sgpr_private_segment_buffer 1
		.amdhsa_user_sgpr_dispatch_ptr 0
		.amdhsa_user_sgpr_queue_ptr 0
		.amdhsa_user_sgpr_kernarg_segment_ptr 1
		.amdhsa_user_sgpr_dispatch_id 0
		.amdhsa_user_sgpr_flat_scratch_init 0
		.amdhsa_user_sgpr_private_segment_size 0
		.amdhsa_uses_dynamic_stack 0
		.amdhsa_system_sgpr_private_segment_wavefront_offset 0
		.amdhsa_system_sgpr_workgroup_id_x 1
		.amdhsa_system_sgpr_workgroup_id_y 0
		.amdhsa_system_sgpr_workgroup_id_z 0
		.amdhsa_system_sgpr_workgroup_info 0
		.amdhsa_system_vgpr_workitem_id 0
		.amdhsa_next_free_vgpr 14
		.amdhsa_next_free_sgpr 20
		.amdhsa_reserve_vcc 1
		.amdhsa_reserve_flat_scratch 0
		.amdhsa_float_round_mode_32 0
		.amdhsa_float_round_mode_16_64 0
		.amdhsa_float_denorm_mode_32 3
		.amdhsa_float_denorm_mode_16_64 3
		.amdhsa_dx10_clamp 1
		.amdhsa_ieee_mode 1
		.amdhsa_fp16_overflow 0
		.amdhsa_exception_fp_ieee_invalid_op 0
		.amdhsa_exception_fp_denorm_src 0
		.amdhsa_exception_fp_ieee_div_zero 0
		.amdhsa_exception_fp_ieee_overflow 0
		.amdhsa_exception_fp_ieee_underflow 0
		.amdhsa_exception_fp_ieee_inexact 0
		.amdhsa_exception_int_div_zero 0
	.end_amdhsa_kernel
	.section	.text._ZN12_GLOBAL__N_141elementwise_kernel_with_index_grid_strideIlZZZN2at6native17linspace_cuda_outERKN3c106ScalarES6_lRNS1_6TensorEENKUlvE_clEvENKUlvE2_clEvEUllE_EEvT_T0_PN15function_traitsISD_E11result_typeE,"axG",@progbits,_ZN12_GLOBAL__N_141elementwise_kernel_with_index_grid_strideIlZZZN2at6native17linspace_cuda_outERKN3c106ScalarES6_lRNS1_6TensorEENKUlvE_clEvENKUlvE2_clEvEUllE_EEvT_T0_PN15function_traitsISD_E11result_typeE,comdat
.Lfunc_end7:
	.size	_ZN12_GLOBAL__N_141elementwise_kernel_with_index_grid_strideIlZZZN2at6native17linspace_cuda_outERKN3c106ScalarES6_lRNS1_6TensorEENKUlvE_clEvENKUlvE2_clEvEUllE_EEvT_T0_PN15function_traitsISD_E11result_typeE, .Lfunc_end7-_ZN12_GLOBAL__N_141elementwise_kernel_with_index_grid_strideIlZZZN2at6native17linspace_cuda_outERKN3c106ScalarES6_lRNS1_6TensorEENKUlvE_clEvENKUlvE2_clEvEUllE_EEvT_T0_PN15function_traitsISD_E11result_typeE
                                        ; -- End function
	.set _ZN12_GLOBAL__N_141elementwise_kernel_with_index_grid_strideIlZZZN2at6native17linspace_cuda_outERKN3c106ScalarES6_lRNS1_6TensorEENKUlvE_clEvENKUlvE2_clEvEUllE_EEvT_T0_PN15function_traitsISD_E11result_typeE.num_vgpr, 14
	.set _ZN12_GLOBAL__N_141elementwise_kernel_with_index_grid_strideIlZZZN2at6native17linspace_cuda_outERKN3c106ScalarES6_lRNS1_6TensorEENKUlvE_clEvENKUlvE2_clEvEUllE_EEvT_T0_PN15function_traitsISD_E11result_typeE.num_agpr, 0
	.set _ZN12_GLOBAL__N_141elementwise_kernel_with_index_grid_strideIlZZZN2at6native17linspace_cuda_outERKN3c106ScalarES6_lRNS1_6TensorEENKUlvE_clEvENKUlvE2_clEvEUllE_EEvT_T0_PN15function_traitsISD_E11result_typeE.numbered_sgpr, 20
	.set _ZN12_GLOBAL__N_141elementwise_kernel_with_index_grid_strideIlZZZN2at6native17linspace_cuda_outERKN3c106ScalarES6_lRNS1_6TensorEENKUlvE_clEvENKUlvE2_clEvEUllE_EEvT_T0_PN15function_traitsISD_E11result_typeE.num_named_barrier, 0
	.set _ZN12_GLOBAL__N_141elementwise_kernel_with_index_grid_strideIlZZZN2at6native17linspace_cuda_outERKN3c106ScalarES6_lRNS1_6TensorEENKUlvE_clEvENKUlvE2_clEvEUllE_EEvT_T0_PN15function_traitsISD_E11result_typeE.private_seg_size, 0
	.set _ZN12_GLOBAL__N_141elementwise_kernel_with_index_grid_strideIlZZZN2at6native17linspace_cuda_outERKN3c106ScalarES6_lRNS1_6TensorEENKUlvE_clEvENKUlvE2_clEvEUllE_EEvT_T0_PN15function_traitsISD_E11result_typeE.uses_vcc, 1
	.set _ZN12_GLOBAL__N_141elementwise_kernel_with_index_grid_strideIlZZZN2at6native17linspace_cuda_outERKN3c106ScalarES6_lRNS1_6TensorEENKUlvE_clEvENKUlvE2_clEvEUllE_EEvT_T0_PN15function_traitsISD_E11result_typeE.uses_flat_scratch, 0
	.set _ZN12_GLOBAL__N_141elementwise_kernel_with_index_grid_strideIlZZZN2at6native17linspace_cuda_outERKN3c106ScalarES6_lRNS1_6TensorEENKUlvE_clEvENKUlvE2_clEvEUllE_EEvT_T0_PN15function_traitsISD_E11result_typeE.has_dyn_sized_stack, 0
	.set _ZN12_GLOBAL__N_141elementwise_kernel_with_index_grid_strideIlZZZN2at6native17linspace_cuda_outERKN3c106ScalarES6_lRNS1_6TensorEENKUlvE_clEvENKUlvE2_clEvEUllE_EEvT_T0_PN15function_traitsISD_E11result_typeE.has_recursion, 0
	.set _ZN12_GLOBAL__N_141elementwise_kernel_with_index_grid_strideIlZZZN2at6native17linspace_cuda_outERKN3c106ScalarES6_lRNS1_6TensorEENKUlvE_clEvENKUlvE2_clEvEUllE_EEvT_T0_PN15function_traitsISD_E11result_typeE.has_indirect_call, 0
	.section	.AMDGPU.csdata,"",@progbits
; Kernel info:
; codeLenInByte = 552
; TotalNumSgprs: 24
; NumVgprs: 14
; ScratchSize: 0
; MemoryBound: 0
; FloatMode: 240
; IeeeMode: 1
; LDSByteSize: 0 bytes/workgroup (compile time only)
; SGPRBlocks: 2
; VGPRBlocks: 3
; NumSGPRsForWavesPerEU: 24
; NumVGPRsForWavesPerEU: 14
; Occupancy: 10
; WaveLimiterHint : 0
; COMPUTE_PGM_RSRC2:SCRATCH_EN: 0
; COMPUTE_PGM_RSRC2:USER_SGPR: 6
; COMPUTE_PGM_RSRC2:TRAP_HANDLER: 0
; COMPUTE_PGM_RSRC2:TGID_X_EN: 1
; COMPUTE_PGM_RSRC2:TGID_Y_EN: 0
; COMPUTE_PGM_RSRC2:TGID_Z_EN: 0
; COMPUTE_PGM_RSRC2:TIDIG_COMP_CNT: 0
	.section	.text._ZN12_GLOBAL__N_141elementwise_kernel_with_index_grid_strideIiZZZN2at6native17linspace_cuda_outERKN3c106ScalarES6_lRNS1_6TensorEENKUlvE_clEvENKUlvE3_clEvEUllE_EEvT_T0_PN15function_traitsISD_E11result_typeE,"axG",@progbits,_ZN12_GLOBAL__N_141elementwise_kernel_with_index_grid_strideIiZZZN2at6native17linspace_cuda_outERKN3c106ScalarES6_lRNS1_6TensorEENKUlvE_clEvENKUlvE3_clEvEUllE_EEvT_T0_PN15function_traitsISD_E11result_typeE,comdat
	.globl	_ZN12_GLOBAL__N_141elementwise_kernel_with_index_grid_strideIiZZZN2at6native17linspace_cuda_outERKN3c106ScalarES6_lRNS1_6TensorEENKUlvE_clEvENKUlvE3_clEvEUllE_EEvT_T0_PN15function_traitsISD_E11result_typeE ; -- Begin function _ZN12_GLOBAL__N_141elementwise_kernel_with_index_grid_strideIiZZZN2at6native17linspace_cuda_outERKN3c106ScalarES6_lRNS1_6TensorEENKUlvE_clEvENKUlvE3_clEvEUllE_EEvT_T0_PN15function_traitsISD_E11result_typeE
	.p2align	8
	.type	_ZN12_GLOBAL__N_141elementwise_kernel_with_index_grid_strideIiZZZN2at6native17linspace_cuda_outERKN3c106ScalarES6_lRNS1_6TensorEENKUlvE_clEvENKUlvE3_clEvEUllE_EEvT_T0_PN15function_traitsISD_E11result_typeE,@function
_ZN12_GLOBAL__N_141elementwise_kernel_with_index_grid_strideIiZZZN2at6native17linspace_cuda_outERKN3c106ScalarES6_lRNS1_6TensorEENKUlvE_clEvENKUlvE3_clEvEUllE_EEvT_T0_PN15function_traitsISD_E11result_typeE: ; @_ZN12_GLOBAL__N_141elementwise_kernel_with_index_grid_strideIiZZZN2at6native17linspace_cuda_outERKN3c106ScalarES6_lRNS1_6TensorEENKUlvE_clEvENKUlvE3_clEvEUllE_EEvT_T0_PN15function_traitsISD_E11result_typeE
; %bb.0:
	s_load_dword s2, s[4:5], 0x3c
	s_load_dword s20, s[4:5], 0x0
	s_add_u32 s0, s4, 48
	s_addc_u32 s1, s5, 0
	s_waitcnt lgkmcnt(0)
	s_and_b32 s2, s2, 0xffff
	s_mul_i32 s3, s6, s2
	v_add_u32_e32 v1, s3, v0
	v_cmp_gt_i32_e32 vcc, s20, v1
	s_and_saveexec_b64 s[8:9], vcc
	s_cbranch_execz .LBB8_12
; %bb.1:
	s_load_dword s0, s[0:1], 0x0
	s_waitcnt lgkmcnt(0)
	s_mul_i32 s12, s0, s2
	v_cvt_f32_u32_e32 v2, s12
	s_sub_i32 s1, 0, s12
	s_add_i32 s0, s6, s0
	s_mul_i32 s0, s0, s2
	v_rcp_iflag_f32_e32 v2, v2
	v_add_u32_e32 v4, s0, v0
	v_mov_b32_e32 v5, s0
	v_cmp_gt_i32_e32 vcc, s20, v4
	v_mul_f32_e32 v2, 0x4f7ffffe, v2
	v_cvt_u32_f32_e32 v2, v2
	v_max_i32_e32 v6, s20, v4
	s_load_dword s3, s[4:5], 0x8
	s_load_dwordx2 s[6:7], s[4:5], 0x10
	s_load_dword s21, s[4:5], 0x18
	s_load_dwordx4 s[8:11], s[4:5], 0x20
	v_mul_lo_u32 v3, s1, v2
	v_addc_co_u32_e64 v0, s[0:1], v0, v5, vcc
	v_sub_u32_e32 v4, v6, v0
	v_mul_hi_u32 v3, v2, v3
	s_waitcnt lgkmcnt(0)
	s_ashr_i32 s0, s3, 16
	s_sext_i32_i16 s1, s3
	v_cvt_f32_i32_e32 v7, s1
	v_add_u32_e32 v0, v2, v3
	v_mul_hi_u32 v2, v4, v0
	v_cvt_f32_i32_e32 v0, s0
	v_mul_lo_u32 v3, v2, s12
	v_add_u32_e32 v5, 1, v2
	v_sub_u32_e32 v3, v4, v3
	v_cmp_le_u32_e64 s[0:1], s12, v3
	v_subrev_u32_e32 v4, s12, v3
	v_cndmask_b32_e64 v2, v2, v5, s[0:1]
	v_cndmask_b32_e64 v3, v3, v4, s[0:1]
	v_add_u32_e32 v4, 1, v2
	v_cmp_le_u32_e64 s[0:1], s12, v3
	v_cndmask_b32_e64 v2, v2, v4, s[0:1]
	v_addc_co_u32_e32 v4, vcc, 1, v2, vcc
	v_cmp_lt_u32_e32 vcc, 1, v4
	s_mov_b64 s[0:1], -1
	s_and_saveexec_b64 s[4:5], vcc
	s_cbranch_execz .LBB8_5
; %bb.2:
	v_add_u32_e32 v2, s12, v1
	v_and_b32_e32 v5, -2, v4
	s_lshl_b32 s23, s12, 1
	v_mov_b32_e32 v3, v2
	s_mov_b32 s14, s8
	s_mov_b32 s15, s9
	;; [unrolled: 1-line block ×7, first 2 shown]
	s_mov_b64 s[18:19], 0
	v_mov_b32_e32 v6, s7
	v_mov_b32_e32 v8, s7
	v_mov_b32_e32 v9, s11
	v_mov_b32_e32 v10, v5
	v_mov_b32_e32 v2, v1
.LBB8_3:                                ; =>This Inner Loop Header: Depth=1
	v_xor_b32_e32 v15, -1, v2
	v_xor_b32_e32 v16, -1, v3
	v_ashrrev_i32_e32 v21, 31, v15
	v_add_co_u32_e32 v15, vcc, s6, v15
	v_ashrrev_i32_e32 v20, 31, v16
	v_add_co_u32_e64 v19, s[0:1], s13, v16
	v_addc_co_u32_e32 v16, vcc, v8, v21, vcc
	v_xor_b32_e32 v21, v15, v16
	v_ffbh_i32_e32 v22, v16
	v_ashrrev_i32_e32 v21, 31, v21
	v_add_u32_e32 v22, -1, v22
	v_add_u32_e32 v21, 32, v21
	v_min_u32_e32 v21, v22, v21
	v_lshlrev_b64 v[15:16], v21, v[15:16]
	v_addc_co_u32_e64 v20, s[0:1], v6, v20, s[0:1]
	v_min_u32_e32 v15, 1, v15
	v_or_b32_e32 v22, v16, v15
	v_xor_b32_e32 v15, v19, v20
	v_ffbh_i32_e32 v16, v20
	v_ashrrev_i32_e32 v15, 31, v15
	v_add_u32_e32 v16, -1, v16
	v_add_u32_e32 v15, 32, v15
	v_min_u32_e32 v23, v16, v15
	v_lshlrev_b64 v[15:16], v23, v[19:20]
	v_ashrrev_i32_e32 v12, 31, v2
	v_min_u32_e32 v15, 1, v15
	v_or_b32_e32 v15, v16, v15
	v_mov_b32_e32 v11, v2
	v_cvt_f32_i32_e32 v22, v22
	v_cvt_f32_i32_e32 v15, v15
	v_lshlrev_b64 v[17:18], 1, v[11:12]
	v_cvt_f32_i32_e32 v19, v2
	v_ashrrev_i32_e32 v14, 31, v3
	v_mov_b32_e32 v13, v3
	v_add_co_u32_e32 v17, vcc, s10, v17
	v_cvt_f32_i32_e32 v20, v3
	v_sub_u32_e32 v16, 32, v21
	v_sub_u32_e32 v21, 32, v23
	v_addc_co_u32_e32 v18, vcc, v9, v18, vcc
	v_add_u32_e32 v10, -2, v10
	v_ldexp_f32 v22, v22, v16
	v_ldexp_f32 v21, v15, v21
	v_lshlrev_b64 v[15:16], 1, v[13:14]
	v_cmp_eq_u32_e32 vcc, 0, v10
	v_cmp_gt_i64_e64 s[2:3], s[14:15], v[11:12]
	s_or_b64 s[18:19], vcc, s[18:19]
	v_cmp_gt_i64_e32 vcc, s[16:17], v[13:14]
	v_add_co_u32_e64 v13, s[0:1], s10, v15
	v_fma_f32 v14, s21, v19, v7
	v_fma_f32 v15, -s21, v22, v0
	v_fma_f32 v20, s22, v20, v7
	v_fma_f32 v21, -s22, v21, v0
	v_cndmask_b32_e64 v11, v15, v14, s[2:3]
	v_cndmask_b32_e32 v12, v21, v20, vcc
	v_cvt_i32_f32_e32 v11, v11
	v_cvt_i32_f32_e32 v12, v12
	v_add_u32_e32 v3, s24, v3
	v_add_u32_e32 v2, s23, v2
	v_addc_co_u32_e64 v14, vcc, v9, v16, s[0:1]
	global_store_short v[17:18], v11, off
	global_store_short v[13:14], v12, off
	s_andn2_b64 exec, exec, s[18:19]
	s_cbranch_execnz .LBB8_3
; %bb.4:
	s_or_b64 exec, exec, s[18:19]
	v_mad_u64_u32 v[1:2], s[0:1], v5, s12, v[1:2]
	v_cmp_ne_u32_e32 vcc, v4, v5
	s_orn2_b64 s[0:1], vcc, exec
.LBB8_5:
	s_or_b64 exec, exec, s[4:5]
	s_and_b64 exec, exec, s[0:1]
	s_cbranch_execz .LBB8_12
; %bb.6:
	v_ashrrev_i32_e32 v2, 31, v1
	v_not_b32_e32 v3, v1
	v_not_b32_e32 v4, v2
	v_mov_b32_e32 v5, s7
	v_add_co_u32_e32 v3, vcc, s6, v3
	v_addc_co_u32_e32 v4, vcc, v4, v5, vcc
	v_lshlrev_b64 v[5:6], 1, v[1:2]
	s_ashr_i32 s13, s12, 31
	v_mov_b32_e32 v8, s11
	v_add_co_u32_e32 v5, vcc, s10, v5
	s_lshl_b64 s[0:1], s[12:13], 1
	v_addc_co_u32_e32 v6, vcc, v8, v6, vcc
	s_mov_b64 s[2:3], 0
	v_mov_b32_e32 v8, s13
	v_mov_b32_e32 v9, s1
	s_branch .LBB8_8
.LBB8_7:                                ;   in Loop: Header=BB8_8 Depth=1
	s_or_b64 exec, exec, s[4:5]
	v_add_co_u32_e32 v1, vcc, s12, v1
	v_cvt_i32_f32_e32 v10, v10
	v_addc_co_u32_e32 v2, vcc, v2, v8, vcc
	v_subrev_co_u32_e32 v3, vcc, s12, v3
	v_subb_co_u32_e32 v4, vcc, v4, v8, vcc
	v_cmp_le_i32_e32 vcc, s20, v1
	global_store_short v[5:6], v10, off
	s_or_b64 s[2:3], vcc, s[2:3]
	v_add_co_u32_e32 v5, vcc, s0, v5
	v_addc_co_u32_e32 v6, vcc, v6, v9, vcc
	s_andn2_b64 exec, exec, s[2:3]
	s_cbranch_execz .LBB8_12
.LBB8_8:                                ; =>This Inner Loop Header: Depth=1
	v_cmp_le_i64_e32 vcc, s[8:9], v[1:2]
                                        ; implicit-def: $vgpr10
	s_and_saveexec_b64 s[4:5], vcc
	s_xor_b64 s[4:5], exec, s[4:5]
	s_cbranch_execz .LBB8_10
; %bb.9:                                ;   in Loop: Header=BB8_8 Depth=1
	v_xor_b32_e32 v11, v3, v4
	v_ffbh_i32_e32 v10, v4
	v_ashrrev_i32_e32 v11, 31, v11
	v_add_u32_e32 v10, -1, v10
	v_add_u32_e32 v11, 32, v11
	v_min_u32_e32 v12, v10, v11
	v_lshlrev_b64 v[10:11], v12, v[3:4]
	v_min_u32_e32 v10, 1, v10
	v_or_b32_e32 v10, v11, v10
	v_cvt_f32_i32_e32 v10, v10
	v_sub_u32_e32 v11, 32, v12
	v_ldexp_f32 v10, v10, v11
	v_fma_f32 v10, -s21, v10, v0
.LBB8_10:                               ;   in Loop: Header=BB8_8 Depth=1
	s_andn2_saveexec_b64 s[4:5], s[4:5]
	s_cbranch_execz .LBB8_7
; %bb.11:                               ;   in Loop: Header=BB8_8 Depth=1
	v_cvt_f32_i32_e32 v10, v1
	v_fma_f32 v10, s21, v10, v7
	s_branch .LBB8_7
.LBB8_12:
	s_endpgm
	.section	.rodata,"a",@progbits
	.p2align	6, 0x0
	.amdhsa_kernel _ZN12_GLOBAL__N_141elementwise_kernel_with_index_grid_strideIiZZZN2at6native17linspace_cuda_outERKN3c106ScalarES6_lRNS1_6TensorEENKUlvE_clEvENKUlvE3_clEvEUllE_EEvT_T0_PN15function_traitsISD_E11result_typeE
		.amdhsa_group_segment_fixed_size 0
		.amdhsa_private_segment_fixed_size 0
		.amdhsa_kernarg_size 304
		.amdhsa_user_sgpr_count 6
		.amdhsa_user_sgpr_private_segment_buffer 1
		.amdhsa_user_sgpr_dispatch_ptr 0
		.amdhsa_user_sgpr_queue_ptr 0
		.amdhsa_user_sgpr_kernarg_segment_ptr 1
		.amdhsa_user_sgpr_dispatch_id 0
		.amdhsa_user_sgpr_flat_scratch_init 0
		.amdhsa_user_sgpr_private_segment_size 0
		.amdhsa_uses_dynamic_stack 0
		.amdhsa_system_sgpr_private_segment_wavefront_offset 0
		.amdhsa_system_sgpr_workgroup_id_x 1
		.amdhsa_system_sgpr_workgroup_id_y 0
		.amdhsa_system_sgpr_workgroup_id_z 0
		.amdhsa_system_sgpr_workgroup_info 0
		.amdhsa_system_vgpr_workitem_id 0
		.amdhsa_next_free_vgpr 24
		.amdhsa_next_free_sgpr 25
		.amdhsa_reserve_vcc 1
		.amdhsa_reserve_flat_scratch 0
		.amdhsa_float_round_mode_32 0
		.amdhsa_float_round_mode_16_64 0
		.amdhsa_float_denorm_mode_32 3
		.amdhsa_float_denorm_mode_16_64 3
		.amdhsa_dx10_clamp 1
		.amdhsa_ieee_mode 1
		.amdhsa_fp16_overflow 0
		.amdhsa_exception_fp_ieee_invalid_op 0
		.amdhsa_exception_fp_denorm_src 0
		.amdhsa_exception_fp_ieee_div_zero 0
		.amdhsa_exception_fp_ieee_overflow 0
		.amdhsa_exception_fp_ieee_underflow 0
		.amdhsa_exception_fp_ieee_inexact 0
		.amdhsa_exception_int_div_zero 0
	.end_amdhsa_kernel
	.section	.text._ZN12_GLOBAL__N_141elementwise_kernel_with_index_grid_strideIiZZZN2at6native17linspace_cuda_outERKN3c106ScalarES6_lRNS1_6TensorEENKUlvE_clEvENKUlvE3_clEvEUllE_EEvT_T0_PN15function_traitsISD_E11result_typeE,"axG",@progbits,_ZN12_GLOBAL__N_141elementwise_kernel_with_index_grid_strideIiZZZN2at6native17linspace_cuda_outERKN3c106ScalarES6_lRNS1_6TensorEENKUlvE_clEvENKUlvE3_clEvEUllE_EEvT_T0_PN15function_traitsISD_E11result_typeE,comdat
.Lfunc_end8:
	.size	_ZN12_GLOBAL__N_141elementwise_kernel_with_index_grid_strideIiZZZN2at6native17linspace_cuda_outERKN3c106ScalarES6_lRNS1_6TensorEENKUlvE_clEvENKUlvE3_clEvEUllE_EEvT_T0_PN15function_traitsISD_E11result_typeE, .Lfunc_end8-_ZN12_GLOBAL__N_141elementwise_kernel_with_index_grid_strideIiZZZN2at6native17linspace_cuda_outERKN3c106ScalarES6_lRNS1_6TensorEENKUlvE_clEvENKUlvE3_clEvEUllE_EEvT_T0_PN15function_traitsISD_E11result_typeE
                                        ; -- End function
	.set _ZN12_GLOBAL__N_141elementwise_kernel_with_index_grid_strideIiZZZN2at6native17linspace_cuda_outERKN3c106ScalarES6_lRNS1_6TensorEENKUlvE_clEvENKUlvE3_clEvEUllE_EEvT_T0_PN15function_traitsISD_E11result_typeE.num_vgpr, 24
	.set _ZN12_GLOBAL__N_141elementwise_kernel_with_index_grid_strideIiZZZN2at6native17linspace_cuda_outERKN3c106ScalarES6_lRNS1_6TensorEENKUlvE_clEvENKUlvE3_clEvEUllE_EEvT_T0_PN15function_traitsISD_E11result_typeE.num_agpr, 0
	.set _ZN12_GLOBAL__N_141elementwise_kernel_with_index_grid_strideIiZZZN2at6native17linspace_cuda_outERKN3c106ScalarES6_lRNS1_6TensorEENKUlvE_clEvENKUlvE3_clEvEUllE_EEvT_T0_PN15function_traitsISD_E11result_typeE.numbered_sgpr, 25
	.set _ZN12_GLOBAL__N_141elementwise_kernel_with_index_grid_strideIiZZZN2at6native17linspace_cuda_outERKN3c106ScalarES6_lRNS1_6TensorEENKUlvE_clEvENKUlvE3_clEvEUllE_EEvT_T0_PN15function_traitsISD_E11result_typeE.num_named_barrier, 0
	.set _ZN12_GLOBAL__N_141elementwise_kernel_with_index_grid_strideIiZZZN2at6native17linspace_cuda_outERKN3c106ScalarES6_lRNS1_6TensorEENKUlvE_clEvENKUlvE3_clEvEUllE_EEvT_T0_PN15function_traitsISD_E11result_typeE.private_seg_size, 0
	.set _ZN12_GLOBAL__N_141elementwise_kernel_with_index_grid_strideIiZZZN2at6native17linspace_cuda_outERKN3c106ScalarES6_lRNS1_6TensorEENKUlvE_clEvENKUlvE3_clEvEUllE_EEvT_T0_PN15function_traitsISD_E11result_typeE.uses_vcc, 1
	.set _ZN12_GLOBAL__N_141elementwise_kernel_with_index_grid_strideIiZZZN2at6native17linspace_cuda_outERKN3c106ScalarES6_lRNS1_6TensorEENKUlvE_clEvENKUlvE3_clEvEUllE_EEvT_T0_PN15function_traitsISD_E11result_typeE.uses_flat_scratch, 0
	.set _ZN12_GLOBAL__N_141elementwise_kernel_with_index_grid_strideIiZZZN2at6native17linspace_cuda_outERKN3c106ScalarES6_lRNS1_6TensorEENKUlvE_clEvENKUlvE3_clEvEUllE_EEvT_T0_PN15function_traitsISD_E11result_typeE.has_dyn_sized_stack, 0
	.set _ZN12_GLOBAL__N_141elementwise_kernel_with_index_grid_strideIiZZZN2at6native17linspace_cuda_outERKN3c106ScalarES6_lRNS1_6TensorEENKUlvE_clEvENKUlvE3_clEvEUllE_EEvT_T0_PN15function_traitsISD_E11result_typeE.has_recursion, 0
	.set _ZN12_GLOBAL__N_141elementwise_kernel_with_index_grid_strideIiZZZN2at6native17linspace_cuda_outERKN3c106ScalarES6_lRNS1_6TensorEENKUlvE_clEvENKUlvE3_clEvEUllE_EEvT_T0_PN15function_traitsISD_E11result_typeE.has_indirect_call, 0
	.section	.AMDGPU.csdata,"",@progbits
; Kernel info:
; codeLenInByte = 952
; TotalNumSgprs: 29
; NumVgprs: 24
; ScratchSize: 0
; MemoryBound: 0
; FloatMode: 240
; IeeeMode: 1
; LDSByteSize: 0 bytes/workgroup (compile time only)
; SGPRBlocks: 3
; VGPRBlocks: 5
; NumSGPRsForWavesPerEU: 29
; NumVGPRsForWavesPerEU: 24
; Occupancy: 10
; WaveLimiterHint : 0
; COMPUTE_PGM_RSRC2:SCRATCH_EN: 0
; COMPUTE_PGM_RSRC2:USER_SGPR: 6
; COMPUTE_PGM_RSRC2:TRAP_HANDLER: 0
; COMPUTE_PGM_RSRC2:TGID_X_EN: 1
; COMPUTE_PGM_RSRC2:TGID_Y_EN: 0
; COMPUTE_PGM_RSRC2:TGID_Z_EN: 0
; COMPUTE_PGM_RSRC2:TIDIG_COMP_CNT: 0
	.section	.text._ZN12_GLOBAL__N_141elementwise_kernel_with_index_grid_strideIlZZZN2at6native17linspace_cuda_outERKN3c106ScalarES6_lRNS1_6TensorEENKUlvE_clEvENKUlvE3_clEvEUllE_EEvT_T0_PN15function_traitsISD_E11result_typeE,"axG",@progbits,_ZN12_GLOBAL__N_141elementwise_kernel_with_index_grid_strideIlZZZN2at6native17linspace_cuda_outERKN3c106ScalarES6_lRNS1_6TensorEENKUlvE_clEvENKUlvE3_clEvEUllE_EEvT_T0_PN15function_traitsISD_E11result_typeE,comdat
	.globl	_ZN12_GLOBAL__N_141elementwise_kernel_with_index_grid_strideIlZZZN2at6native17linspace_cuda_outERKN3c106ScalarES6_lRNS1_6TensorEENKUlvE_clEvENKUlvE3_clEvEUllE_EEvT_T0_PN15function_traitsISD_E11result_typeE ; -- Begin function _ZN12_GLOBAL__N_141elementwise_kernel_with_index_grid_strideIlZZZN2at6native17linspace_cuda_outERKN3c106ScalarES6_lRNS1_6TensorEENKUlvE_clEvENKUlvE3_clEvEUllE_EEvT_T0_PN15function_traitsISD_E11result_typeE
	.p2align	8
	.type	_ZN12_GLOBAL__N_141elementwise_kernel_with_index_grid_strideIlZZZN2at6native17linspace_cuda_outERKN3c106ScalarES6_lRNS1_6TensorEENKUlvE_clEvENKUlvE3_clEvEUllE_EEvT_T0_PN15function_traitsISD_E11result_typeE,@function
_ZN12_GLOBAL__N_141elementwise_kernel_with_index_grid_strideIlZZZN2at6native17linspace_cuda_outERKN3c106ScalarES6_lRNS1_6TensorEENKUlvE_clEvENKUlvE3_clEvEUllE_EEvT_T0_PN15function_traitsISD_E11result_typeE: ; @_ZN12_GLOBAL__N_141elementwise_kernel_with_index_grid_strideIlZZZN2at6native17linspace_cuda_outERKN3c106ScalarES6_lRNS1_6TensorEENKUlvE_clEvENKUlvE3_clEvEUllE_EEvT_T0_PN15function_traitsISD_E11result_typeE
; %bb.0:
	s_load_dword s2, s[4:5], 0x3c
	s_load_dwordx2 s[12:13], s[4:5], 0x0
	s_add_u32 s0, s4, 48
	s_addc_u32 s1, s5, 0
	v_mov_b32_e32 v1, 0
	s_waitcnt lgkmcnt(0)
	s_and_b32 s2, s2, 0xffff
	v_mov_b32_e32 v2, s6
	v_mad_u64_u32 v[2:3], s[8:9], s2, v2, v[0:1]
	v_cmp_gt_i64_e32 vcc, s[12:13], v[2:3]
	s_and_saveexec_b64 s[8:9], vcc
	s_cbranch_execz .LBB9_18
; %bb.1:
	s_load_dword s3, s[0:1], 0x0
	v_mov_b32_e32 v4, s2
	v_mov_b32_e32 v7, s13
	;; [unrolled: 1-line block ×3, first 2 shown]
	s_waitcnt lgkmcnt(0)
	s_add_u32 s0, s6, s3
	v_mad_u64_u32 v[5:6], s[0:1], s0, v4, v[0:1]
	s_addc_u32 s0, 0, 0
	s_mul_i32 s0, s0, s2
	v_add_u32_e32 v6, s0, v6
	v_cmp_gt_i64_e32 vcc, s[12:13], v[5:6]
	s_mul_hi_u32 s7, s2, s3
	v_cndmask_b32_e64 v4, 0, 1, vcc
	v_cndmask_b32_e32 v0, v6, v7, vcc
	v_cndmask_b32_e32 v7, v5, v8, vcc
	v_add_co_u32_e32 v5, vcc, v5, v4
	v_addc_co_u32_e32 v6, vcc, 0, v6, vcc
	v_sub_co_u32_e32 v5, vcc, v7, v5
	v_subb_co_u32_e32 v6, vcc, v0, v6, vcc
	v_or_b32_e32 v8, s7, v6
	v_mov_b32_e32 v7, v1
	v_cmp_ne_u64_e32 vcc, 0, v[7:8]
	s_mul_i32 s6, s2, s3
                                        ; implicit-def: $vgpr0_vgpr1
	s_and_saveexec_b64 s[0:1], vcc
	s_xor_b64 s[2:3], exec, s[0:1]
	s_cbranch_execz .LBB9_3
; %bb.2:
	v_cvt_f32_u32_e32 v0, s6
	v_cvt_f32_u32_e32 v1, s7
	s_sub_u32 s8, 0, s6
	s_subb_u32 s9, 0, s7
	v_madmk_f32 v0, v1, 0x4f800000, v0
	v_rcp_f32_e32 v0, v0
	v_mul_f32_e32 v0, 0x5f7ffffc, v0
	v_mul_f32_e32 v1, 0x2f800000, v0
	v_trunc_f32_e32 v1, v1
	v_madmk_f32 v0, v1, 0xcf800000, v0
	v_cvt_u32_f32_e32 v1, v1
	v_cvt_u32_f32_e32 v0, v0
	v_readfirstlane_b32 s10, v1
	v_readfirstlane_b32 s0, v0
	s_mul_i32 s1, s8, s10
	s_mul_hi_u32 s14, s8, s0
	s_mul_i32 s11, s9, s0
	s_add_i32 s1, s14, s1
	s_mul_i32 s15, s8, s0
	s_add_i32 s1, s1, s11
	s_mul_i32 s14, s0, s1
	s_mul_hi_u32 s16, s0, s15
	s_mul_hi_u32 s11, s0, s1
	s_add_u32 s14, s16, s14
	s_addc_u32 s11, 0, s11
	s_mul_hi_u32 s17, s10, s15
	s_mul_i32 s15, s10, s15
	s_add_u32 s14, s14, s15
	s_mul_hi_u32 s16, s10, s1
	s_addc_u32 s11, s11, s17
	s_addc_u32 s14, s16, 0
	s_mul_i32 s1, s10, s1
	s_add_u32 s1, s11, s1
	s_addc_u32 s11, 0, s14
	s_add_u32 s14, s0, s1
	s_cselect_b64 s[0:1], -1, 0
	s_cmp_lg_u64 s[0:1], 0
	s_addc_u32 s10, s10, s11
	s_mul_i32 s0, s8, s10
	s_mul_hi_u32 s1, s8, s14
	s_add_i32 s0, s1, s0
	s_mul_i32 s9, s9, s14
	s_add_i32 s0, s0, s9
	s_mul_i32 s8, s8, s14
	s_mul_hi_u32 s9, s10, s8
	s_mul_i32 s11, s10, s8
	s_mul_i32 s16, s14, s0
	s_mul_hi_u32 s8, s14, s8
	s_mul_hi_u32 s15, s14, s0
	s_add_u32 s8, s8, s16
	s_addc_u32 s15, 0, s15
	s_add_u32 s8, s8, s11
	s_mul_hi_u32 s1, s10, s0
	s_addc_u32 s8, s15, s9
	s_addc_u32 s1, s1, 0
	s_mul_i32 s0, s10, s0
	s_add_u32 s0, s8, s0
	s_addc_u32 s8, 0, s1
	s_add_u32 s9, s14, s0
	s_cselect_b64 s[0:1], -1, 0
	s_cmp_lg_u64 s[0:1], 0
	s_addc_u32 s8, s10, s8
	v_mad_u64_u32 v[0:1], s[0:1], v5, s8, 0
	v_mul_hi_u32 v7, v5, s9
	v_add_co_u32_e32 v9, vcc, v7, v0
	v_addc_co_u32_e32 v10, vcc, 0, v1, vcc
	v_mad_u64_u32 v[0:1], s[0:1], v6, s9, 0
	v_mad_u64_u32 v[7:8], s[0:1], v6, s8, 0
	v_add_co_u32_e32 v0, vcc, v9, v0
	v_addc_co_u32_e32 v0, vcc, v10, v1, vcc
	v_addc_co_u32_e32 v1, vcc, 0, v8, vcc
	v_add_co_u32_e32 v7, vcc, v0, v7
	v_addc_co_u32_e32 v8, vcc, 0, v1, vcc
	v_mul_lo_u32 v9, s7, v7
	v_mul_lo_u32 v10, s6, v8
	v_mad_u64_u32 v[0:1], s[0:1], s6, v7, 0
	v_add3_u32 v1, v1, v10, v9
	v_sub_u32_e32 v9, v6, v1
	v_mov_b32_e32 v10, s7
	v_sub_co_u32_e32 v0, vcc, v5, v0
	v_subb_co_u32_e64 v5, s[0:1], v9, v10, vcc
	v_subrev_co_u32_e64 v9, s[0:1], s6, v0
	v_subbrev_co_u32_e64 v5, s[0:1], 0, v5, s[0:1]
	v_cmp_le_u32_e64 s[0:1], s7, v5
	v_cndmask_b32_e64 v10, 0, -1, s[0:1]
	v_cmp_le_u32_e64 s[0:1], s6, v9
	v_cndmask_b32_e64 v9, 0, -1, s[0:1]
	v_cmp_eq_u32_e64 s[0:1], s7, v5
	v_cndmask_b32_e64 v5, v10, v9, s[0:1]
	v_add_co_u32_e64 v9, s[0:1], 2, v7
	v_subb_co_u32_e32 v1, vcc, v6, v1, vcc
	v_addc_co_u32_e64 v10, s[0:1], 0, v8, s[0:1]
	v_cmp_le_u32_e32 vcc, s7, v1
	v_add_co_u32_e64 v11, s[0:1], 1, v7
	v_cndmask_b32_e64 v6, 0, -1, vcc
	v_cmp_le_u32_e32 vcc, s6, v0
	v_addc_co_u32_e64 v12, s[0:1], 0, v8, s[0:1]
	v_cndmask_b32_e64 v0, 0, -1, vcc
	v_cmp_eq_u32_e32 vcc, s7, v1
	v_cmp_ne_u32_e64 s[0:1], 0, v5
	v_cndmask_b32_e32 v0, v6, v0, vcc
	v_cndmask_b32_e64 v5, v12, v10, s[0:1]
	v_cmp_ne_u32_e32 vcc, 0, v0
	v_cndmask_b32_e64 v0, v11, v9, s[0:1]
	v_cndmask_b32_e32 v1, v8, v5, vcc
	v_cndmask_b32_e32 v0, v7, v0, vcc
                                        ; implicit-def: $vgpr5
.LBB9_3:
	s_or_saveexec_b64 s[0:1], s[2:3]
	s_load_dwordx2 s[14:15], s[4:5], 0x10
	s_load_dword s2, s[4:5], 0x8
	s_load_dwordx4 s[8:11], s[4:5], 0x20
	s_xor_b64 exec, exec, s[0:1]
	s_cbranch_execz .LBB9_5
; %bb.4:
	v_cvt_f32_u32_e32 v0, s6
	s_sub_i32 s3, 0, s6
	v_rcp_iflag_f32_e32 v0, v0
	v_mul_f32_e32 v0, 0x4f7ffffe, v0
	v_cvt_u32_f32_e32 v0, v0
	v_mul_lo_u32 v1, s3, v0
	v_mul_hi_u32 v1, v0, v1
	v_add_u32_e32 v0, v0, v1
	v_mul_hi_u32 v0, v5, v0
	v_mul_lo_u32 v1, v0, s6
	v_add_u32_e32 v6, 1, v0
	v_sub_u32_e32 v1, v5, v1
	v_subrev_u32_e32 v5, s6, v1
	v_cmp_le_u32_e32 vcc, s6, v1
	v_cndmask_b32_e32 v1, v1, v5, vcc
	v_cndmask_b32_e32 v0, v0, v6, vcc
	v_add_u32_e32 v5, 1, v0
	v_cmp_le_u32_e32 vcc, s6, v1
	v_cndmask_b32_e32 v0, v0, v5, vcc
	v_mov_b32_e32 v1, 0
.LBB9_5:
	s_or_b64 exec, exec, s[0:1]
	s_waitcnt lgkmcnt(0)
	s_ashr_i32 s0, s2, 16
	v_add_co_u32_e32 v0, vcc, v0, v4
	s_load_dword s26, s[4:5], 0x18
	v_cvt_f32_i32_e32 v14, s0
	s_sext_i32_i16 s0, s2
	v_addc_co_u32_e32 v1, vcc, 0, v1, vcc
	v_cvt_f32_i32_e32 v15, s0
	v_add_co_u32_e32 v0, vcc, 1, v0
	v_addc_co_u32_e32 v1, vcc, 0, v1, vcc
	v_cmp_lt_u64_e32 vcc, 1, v[0:1]
	s_mov_b64 s[0:1], 0
                                        ; implicit-def: $vgpr4_vgpr5
	s_and_saveexec_b64 s[2:3], vcc
	s_xor_b64 s[4:5], exec, s[2:3]
	s_cbranch_execnz .LBB9_8
; %bb.6:
	s_andn2_saveexec_b64 s[2:3], s[4:5]
	s_cbranch_execnz .LBB9_11
.LBB9_7:
	s_or_b64 exec, exec, s[2:3]
	s_and_b64 exec, exec, s[0:1]
	s_cbranch_execnz .LBB9_12
	s_branch .LBB9_18
.LBB9_8:
	v_mov_b32_e32 v5, s7
	v_add_co_u32_e32 v4, vcc, s6, v2
	v_lshlrev_b64 v[6:7], 1, v[2:3]
	v_addc_co_u32_e32 v5, vcc, v3, v5, vcc
	v_mov_b32_e32 v9, v1
	v_mov_b32_e32 v11, s11
	v_add_co_u32_e32 v10, vcc, s10, v6
	v_and_b32_e32 v8, -2, v0
	s_lshl_b64 s[20:21], s[6:7], 1
	v_addc_co_u32_e32 v11, vcc, v11, v7, vcc
	s_lshl_b64 s[24:25], s[6:7], 2
	v_mov_b32_e32 v13, v9
	v_mov_b32_e32 v7, v5
	s_mov_b32 s16, s8
	s_mov_b32 s17, s9
	;; [unrolled: 1-line block ×5, first 2 shown]
	s_waitcnt lgkmcnt(0)
	s_mov_b32 s28, s26
	s_mov_b32 s29, s20
	s_mov_b64 s[22:23], 0
	v_mov_b32_e32 v16, s15
	v_mov_b32_e32 v17, s15
	;; [unrolled: 1-line block ×10, first 2 shown]
.LBB9_9:                                ; =>This Inner Loop Header: Depth=1
	v_not_b32_e32 v22, v6
	v_not_b32_e32 v23, v7
	v_add_co_u32_e64 v22, s[2:3], s27, v22
	v_not_b32_e32 v24, v4
	v_addc_co_u32_e64 v23, s[2:3], v16, v23, s[2:3]
	v_not_b32_e32 v25, v5
	v_add_co_u32_e64 v24, s[2:3], s14, v24
	v_addc_co_u32_e64 v25, s[2:3], v17, v25, s[2:3]
	v_xor_b32_e32 v26, v24, v25
	v_ashrrev_i32_e32 v26, 31, v26
	v_ffbh_i32_e32 v27, v25
	v_add_u32_e32 v26, 32, v26
	v_add_u32_e32 v27, -1, v27
	v_min_u32_e32 v26, v27, v26
	v_lshlrev_b64 v[24:25], v26, v[24:25]
	v_cmp_gt_i64_e32 vcc, s[18:19], v[6:7]
	v_min_u32_e32 v24, 1, v24
	v_or_b32_e32 v24, v25, v24
	v_cvt_f32_i32_e32 v24, v24
	v_sub_u32_e32 v25, 32, v26
	v_ffbh_i32_e32 v26, v23
	v_add_u32_e32 v26, -1, v26
	v_ldexp_f32 v24, v24, v25
	v_xor_b32_e32 v25, v22, v23
	v_ashrrev_i32_e32 v25, 31, v25
	v_add_u32_e32 v25, 32, v25
	v_min_u32_e32 v25, v26, v25
	v_lshlrev_b64 v[22:23], v25, v[22:23]
	v_cmp_gt_i64_e64 s[0:1], s[16:17], v[4:5]
	v_min_u32_e32 v22, 1, v22
	v_or_b32_e32 v22, v23, v22
	v_cvt_f32_i32_e32 v22, v22
	v_sub_u32_e32 v23, 32, v25
	v_fma_f32 v24, -s26, v24, v14
	v_ldexp_f32 v22, v22, v23
	v_fma_f32 v25, -s28, v22, v14
	v_ffbh_u32_e32 v22, v5
	v_min_u32_e32 v26, 32, v22
	v_lshlrev_b64 v[22:23], v26, v[4:5]
	v_min_u32_e32 v22, 1, v22
	v_or_b32_e32 v22, v23, v22
	v_cvt_f32_u32_e32 v22, v22
	v_sub_u32_e32 v23, 32, v26
	v_ldexp_f32 v26, v22, v23
	v_ffbh_u32_e32 v22, v7
	v_min_u32_e32 v27, 32, v22
	v_lshlrev_b64 v[22:23], v27, v[6:7]
	v_min_u32_e32 v22, 1, v22
	v_or_b32_e32 v22, v23, v22
	v_cvt_f32_u32_e32 v22, v22
	v_sub_u32_e32 v23, 32, v27
	v_ldexp_f32 v22, v22, v23
	v_fma_f32 v22, s28, v22, v15
	v_fma_f32 v23, s26, v26, v15
	v_cndmask_b32_e32 v22, v25, v22, vcc
	v_cndmask_b32_e64 v23, v24, v23, s[0:1]
	v_cvt_i32_f32_e32 v24, v22
	v_add_co_u32_e32 v22, vcc, s20, v10
	v_cvt_i32_f32_e32 v25, v23
	v_addc_co_u32_e32 v23, vcc, v11, v18, vcc
	v_add_co_u32_e32 v6, vcc, s29, v6
	v_addc_co_u32_e32 v7, vcc, v7, v19, vcc
	v_add_co_u32_e32 v4, vcc, s20, v4
	v_addc_co_u32_e32 v5, vcc, v5, v20, vcc
	v_add_co_u32_e32 v12, vcc, -2, v12
	v_addc_co_u32_e32 v13, vcc, -1, v13, vcc
	global_store_short v[10:11], v25, off
	global_store_short v[22:23], v24, off
	v_add_co_u32_e32 v10, vcc, s24, v10
	v_addc_co_u32_e32 v11, vcc, v11, v21, vcc
	v_cmp_eq_u64_e32 vcc, 0, v[12:13]
	s_or_b64 s[22:23], vcc, s[22:23]
	s_andn2_b64 exec, exec, s[22:23]
	s_cbranch_execnz .LBB9_9
; %bb.10:
	s_or_b64 exec, exec, s[22:23]
	v_mad_u64_u32 v[2:3], s[0:1], v8, s6, v[2:3]
	v_mul_lo_u32 v4, v8, s7
	v_mul_lo_u32 v5, v9, s6
	v_cmp_ne_u64_e32 vcc, v[0:1], v[8:9]
	s_and_b64 s[0:1], vcc, exec
	v_add3_u32 v3, v5, v3, v4
	v_mov_b32_e32 v4, s20
	v_mov_b32_e32 v5, s21
	s_andn2_saveexec_b64 s[2:3], s[4:5]
	s_cbranch_execz .LBB9_7
.LBB9_11:
	s_lshl_b64 s[4:5], s[6:7], 1
	v_mov_b32_e32 v4, s4
	v_mov_b32_e32 v5, s5
	s_or_b64 s[0:1], s[0:1], exec
	s_or_b64 exec, exec, s[2:3]
	s_and_b64 exec, exec, s[0:1]
	s_cbranch_execz .LBB9_18
.LBB9_12:
	v_not_b32_e32 v0, v2
	v_not_b32_e32 v1, v3
	v_mov_b32_e32 v6, s15
	v_add_co_u32_e32 v0, vcc, s14, v0
	v_addc_co_u32_e32 v1, vcc, v1, v6, vcc
	v_lshlrev_b64 v[6:7], 1, v[2:3]
	v_mov_b32_e32 v8, s11
	v_add_co_u32_e32 v6, vcc, s10, v6
	v_addc_co_u32_e32 v7, vcc, v8, v7, vcc
	s_mov_b64 s[2:3], 0
	v_mov_b32_e32 v8, s7
	s_branch .LBB9_14
.LBB9_13:                               ;   in Loop: Header=BB9_14 Depth=1
	s_or_b64 exec, exec, s[0:1]
	v_cvt_i32_f32_e32 v9, v9
	v_add_co_u32_e32 v2, vcc, s6, v2
	v_addc_co_u32_e32 v3, vcc, v3, v8, vcc
	v_cmp_le_i64_e32 vcc, s[12:13], v[2:3]
	global_store_short v[6:7], v9, off
	v_subrev_co_u32_e64 v0, s[0:1], s6, v0
	s_or_b64 s[2:3], vcc, s[2:3]
	v_add_co_u32_e32 v6, vcc, v6, v4
	v_subb_co_u32_e64 v1, s[0:1], v1, v8, s[0:1]
	v_addc_co_u32_e32 v7, vcc, v7, v5, vcc
	s_andn2_b64 exec, exec, s[2:3]
	s_cbranch_execz .LBB9_18
.LBB9_14:                               ; =>This Inner Loop Header: Depth=1
	v_cmp_le_i64_e32 vcc, s[8:9], v[2:3]
                                        ; implicit-def: $vgpr9
	s_and_saveexec_b64 s[0:1], vcc
	s_xor_b64 s[0:1], exec, s[0:1]
	s_cbranch_execz .LBB9_16
; %bb.15:                               ;   in Loop: Header=BB9_14 Depth=1
	v_xor_b32_e32 v10, v0, v1
	v_ffbh_i32_e32 v9, v1
	v_ashrrev_i32_e32 v10, 31, v10
	v_add_u32_e32 v9, -1, v9
	v_add_u32_e32 v10, 32, v10
	v_min_u32_e32 v11, v9, v10
	v_lshlrev_b64 v[9:10], v11, v[0:1]
	v_min_u32_e32 v9, 1, v9
	v_or_b32_e32 v9, v10, v9
	v_cvt_f32_i32_e32 v9, v9
	v_sub_u32_e32 v10, 32, v11
	v_ldexp_f32 v9, v9, v10
	s_waitcnt lgkmcnt(0)
	v_fma_f32 v9, -s26, v9, v14
.LBB9_16:                               ;   in Loop: Header=BB9_14 Depth=1
	s_andn2_saveexec_b64 s[0:1], s[0:1]
	s_cbranch_execz .LBB9_13
; %bb.17:                               ;   in Loop: Header=BB9_14 Depth=1
	v_ffbh_u32_e32 v9, v3
	v_min_u32_e32 v11, 32, v9
	v_lshlrev_b64 v[9:10], v11, v[2:3]
	v_min_u32_e32 v9, 1, v9
	v_or_b32_e32 v9, v10, v9
	v_cvt_f32_u32_e32 v9, v9
	v_sub_u32_e32 v10, 32, v11
	v_ldexp_f32 v9, v9, v10
	s_waitcnt lgkmcnt(0)
	v_fma_f32 v9, s26, v9, v15
	s_branch .LBB9_13
.LBB9_18:
	s_endpgm
	.section	.rodata,"a",@progbits
	.p2align	6, 0x0
	.amdhsa_kernel _ZN12_GLOBAL__N_141elementwise_kernel_with_index_grid_strideIlZZZN2at6native17linspace_cuda_outERKN3c106ScalarES6_lRNS1_6TensorEENKUlvE_clEvENKUlvE3_clEvEUllE_EEvT_T0_PN15function_traitsISD_E11result_typeE
		.amdhsa_group_segment_fixed_size 0
		.amdhsa_private_segment_fixed_size 0
		.amdhsa_kernarg_size 304
		.amdhsa_user_sgpr_count 6
		.amdhsa_user_sgpr_private_segment_buffer 1
		.amdhsa_user_sgpr_dispatch_ptr 0
		.amdhsa_user_sgpr_queue_ptr 0
		.amdhsa_user_sgpr_kernarg_segment_ptr 1
		.amdhsa_user_sgpr_dispatch_id 0
		.amdhsa_user_sgpr_flat_scratch_init 0
		.amdhsa_user_sgpr_private_segment_size 0
		.amdhsa_uses_dynamic_stack 0
		.amdhsa_system_sgpr_private_segment_wavefront_offset 0
		.amdhsa_system_sgpr_workgroup_id_x 1
		.amdhsa_system_sgpr_workgroup_id_y 0
		.amdhsa_system_sgpr_workgroup_id_z 0
		.amdhsa_system_sgpr_workgroup_info 0
		.amdhsa_system_vgpr_workitem_id 0
		.amdhsa_next_free_vgpr 28
		.amdhsa_next_free_sgpr 30
		.amdhsa_reserve_vcc 1
		.amdhsa_reserve_flat_scratch 0
		.amdhsa_float_round_mode_32 0
		.amdhsa_float_round_mode_16_64 0
		.amdhsa_float_denorm_mode_32 3
		.amdhsa_float_denorm_mode_16_64 3
		.amdhsa_dx10_clamp 1
		.amdhsa_ieee_mode 1
		.amdhsa_fp16_overflow 0
		.amdhsa_exception_fp_ieee_invalid_op 0
		.amdhsa_exception_fp_denorm_src 0
		.amdhsa_exception_fp_ieee_div_zero 0
		.amdhsa_exception_fp_ieee_overflow 0
		.amdhsa_exception_fp_ieee_underflow 0
		.amdhsa_exception_fp_ieee_inexact 0
		.amdhsa_exception_int_div_zero 0
	.end_amdhsa_kernel
	.section	.text._ZN12_GLOBAL__N_141elementwise_kernel_with_index_grid_strideIlZZZN2at6native17linspace_cuda_outERKN3c106ScalarES6_lRNS1_6TensorEENKUlvE_clEvENKUlvE3_clEvEUllE_EEvT_T0_PN15function_traitsISD_E11result_typeE,"axG",@progbits,_ZN12_GLOBAL__N_141elementwise_kernel_with_index_grid_strideIlZZZN2at6native17linspace_cuda_outERKN3c106ScalarES6_lRNS1_6TensorEENKUlvE_clEvENKUlvE3_clEvEUllE_EEvT_T0_PN15function_traitsISD_E11result_typeE,comdat
.Lfunc_end9:
	.size	_ZN12_GLOBAL__N_141elementwise_kernel_with_index_grid_strideIlZZZN2at6native17linspace_cuda_outERKN3c106ScalarES6_lRNS1_6TensorEENKUlvE_clEvENKUlvE3_clEvEUllE_EEvT_T0_PN15function_traitsISD_E11result_typeE, .Lfunc_end9-_ZN12_GLOBAL__N_141elementwise_kernel_with_index_grid_strideIlZZZN2at6native17linspace_cuda_outERKN3c106ScalarES6_lRNS1_6TensorEENKUlvE_clEvENKUlvE3_clEvEUllE_EEvT_T0_PN15function_traitsISD_E11result_typeE
                                        ; -- End function
	.set _ZN12_GLOBAL__N_141elementwise_kernel_with_index_grid_strideIlZZZN2at6native17linspace_cuda_outERKN3c106ScalarES6_lRNS1_6TensorEENKUlvE_clEvENKUlvE3_clEvEUllE_EEvT_T0_PN15function_traitsISD_E11result_typeE.num_vgpr, 28
	.set _ZN12_GLOBAL__N_141elementwise_kernel_with_index_grid_strideIlZZZN2at6native17linspace_cuda_outERKN3c106ScalarES6_lRNS1_6TensorEENKUlvE_clEvENKUlvE3_clEvEUllE_EEvT_T0_PN15function_traitsISD_E11result_typeE.num_agpr, 0
	.set _ZN12_GLOBAL__N_141elementwise_kernel_with_index_grid_strideIlZZZN2at6native17linspace_cuda_outERKN3c106ScalarES6_lRNS1_6TensorEENKUlvE_clEvENKUlvE3_clEvEUllE_EEvT_T0_PN15function_traitsISD_E11result_typeE.numbered_sgpr, 30
	.set _ZN12_GLOBAL__N_141elementwise_kernel_with_index_grid_strideIlZZZN2at6native17linspace_cuda_outERKN3c106ScalarES6_lRNS1_6TensorEENKUlvE_clEvENKUlvE3_clEvEUllE_EEvT_T0_PN15function_traitsISD_E11result_typeE.num_named_barrier, 0
	.set _ZN12_GLOBAL__N_141elementwise_kernel_with_index_grid_strideIlZZZN2at6native17linspace_cuda_outERKN3c106ScalarES6_lRNS1_6TensorEENKUlvE_clEvENKUlvE3_clEvEUllE_EEvT_T0_PN15function_traitsISD_E11result_typeE.private_seg_size, 0
	.set _ZN12_GLOBAL__N_141elementwise_kernel_with_index_grid_strideIlZZZN2at6native17linspace_cuda_outERKN3c106ScalarES6_lRNS1_6TensorEENKUlvE_clEvENKUlvE3_clEvEUllE_EEvT_T0_PN15function_traitsISD_E11result_typeE.uses_vcc, 1
	.set _ZN12_GLOBAL__N_141elementwise_kernel_with_index_grid_strideIlZZZN2at6native17linspace_cuda_outERKN3c106ScalarES6_lRNS1_6TensorEENKUlvE_clEvENKUlvE3_clEvEUllE_EEvT_T0_PN15function_traitsISD_E11result_typeE.uses_flat_scratch, 0
	.set _ZN12_GLOBAL__N_141elementwise_kernel_with_index_grid_strideIlZZZN2at6native17linspace_cuda_outERKN3c106ScalarES6_lRNS1_6TensorEENKUlvE_clEvENKUlvE3_clEvEUllE_EEvT_T0_PN15function_traitsISD_E11result_typeE.has_dyn_sized_stack, 0
	.set _ZN12_GLOBAL__N_141elementwise_kernel_with_index_grid_strideIlZZZN2at6native17linspace_cuda_outERKN3c106ScalarES6_lRNS1_6TensorEENKUlvE_clEvENKUlvE3_clEvEUllE_EEvT_T0_PN15function_traitsISD_E11result_typeE.has_recursion, 0
	.set _ZN12_GLOBAL__N_141elementwise_kernel_with_index_grid_strideIlZZZN2at6native17linspace_cuda_outERKN3c106ScalarES6_lRNS1_6TensorEENKUlvE_clEvENKUlvE3_clEvEUllE_EEvT_T0_PN15function_traitsISD_E11result_typeE.has_indirect_call, 0
	.section	.AMDGPU.csdata,"",@progbits
; Kernel info:
; codeLenInByte = 1824
; TotalNumSgprs: 34
; NumVgprs: 28
; ScratchSize: 0
; MemoryBound: 0
; FloatMode: 240
; IeeeMode: 1
; LDSByteSize: 0 bytes/workgroup (compile time only)
; SGPRBlocks: 4
; VGPRBlocks: 6
; NumSGPRsForWavesPerEU: 34
; NumVGPRsForWavesPerEU: 28
; Occupancy: 9
; WaveLimiterHint : 0
; COMPUTE_PGM_RSRC2:SCRATCH_EN: 0
; COMPUTE_PGM_RSRC2:USER_SGPR: 6
; COMPUTE_PGM_RSRC2:TRAP_HANDLER: 0
; COMPUTE_PGM_RSRC2:TGID_X_EN: 1
; COMPUTE_PGM_RSRC2:TGID_Y_EN: 0
; COMPUTE_PGM_RSRC2:TGID_Z_EN: 0
; COMPUTE_PGM_RSRC2:TIDIG_COMP_CNT: 0
	.section	.text._ZN12_GLOBAL__N_141elementwise_kernel_with_index_grid_strideIiZZZN2at6native17linspace_cuda_outERKN3c106ScalarES6_lRNS1_6TensorEENKUlvE0_clEvENKUlvE_clEvEUllE_EEvT_T0_PN15function_traitsISD_E11result_typeE,"axG",@progbits,_ZN12_GLOBAL__N_141elementwise_kernel_with_index_grid_strideIiZZZN2at6native17linspace_cuda_outERKN3c106ScalarES6_lRNS1_6TensorEENKUlvE0_clEvENKUlvE_clEvEUllE_EEvT_T0_PN15function_traitsISD_E11result_typeE,comdat
	.globl	_ZN12_GLOBAL__N_141elementwise_kernel_with_index_grid_strideIiZZZN2at6native17linspace_cuda_outERKN3c106ScalarES6_lRNS1_6TensorEENKUlvE0_clEvENKUlvE_clEvEUllE_EEvT_T0_PN15function_traitsISD_E11result_typeE ; -- Begin function _ZN12_GLOBAL__N_141elementwise_kernel_with_index_grid_strideIiZZZN2at6native17linspace_cuda_outERKN3c106ScalarES6_lRNS1_6TensorEENKUlvE0_clEvENKUlvE_clEvEUllE_EEvT_T0_PN15function_traitsISD_E11result_typeE
	.p2align	8
	.type	_ZN12_GLOBAL__N_141elementwise_kernel_with_index_grid_strideIiZZZN2at6native17linspace_cuda_outERKN3c106ScalarES6_lRNS1_6TensorEENKUlvE0_clEvENKUlvE_clEvEUllE_EEvT_T0_PN15function_traitsISD_E11result_typeE,@function
_ZN12_GLOBAL__N_141elementwise_kernel_with_index_grid_strideIiZZZN2at6native17linspace_cuda_outERKN3c106ScalarES6_lRNS1_6TensorEENKUlvE0_clEvENKUlvE_clEvEUllE_EEvT_T0_PN15function_traitsISD_E11result_typeE: ; @_ZN12_GLOBAL__N_141elementwise_kernel_with_index_grid_strideIiZZZN2at6native17linspace_cuda_outERKN3c106ScalarES6_lRNS1_6TensorEENKUlvE0_clEvENKUlvE_clEvEUllE_EEvT_T0_PN15function_traitsISD_E11result_typeE
; %bb.0:
	s_load_dword s0, s[4:5], 0x44
	s_load_dword s18, s[4:5], 0x0
	s_add_u32 s16, s4, 56
	s_addc_u32 s17, s5, 0
	s_waitcnt lgkmcnt(0)
	s_and_b32 s7, s0, 0xffff
	s_mul_i32 s6, s6, s7
	v_add_u32_e32 v0, s6, v0
	v_cmp_gt_i32_e32 vcc, s18, v0
	s_and_saveexec_b64 s[0:1], vcc
	s_cbranch_execz .LBB10_7
; %bb.1:
	s_load_dword s6, s[16:17], 0x0
	s_load_dwordx8 s[8:15], s[4:5], 0x8
	s_load_dwordx4 s[0:3], s[4:5], 0x28
	v_ashrrev_i32_e32 v1, 31, v0
	v_not_b32_e32 v3, v0
	v_not_b32_e32 v2, v1
	s_waitcnt lgkmcnt(0)
	v_mov_b32_e32 v4, s13
	v_add_co_u32_e32 v6, vcc, s12, v3
	s_mul_i32 s4, s6, s7
	v_addc_co_u32_e32 v7, vcc, v2, v4, vcc
	v_lshlrev_b64 v[2:3], 3, v[0:1]
	s_ashr_i32 s5, s4, 31
	v_mov_b32_e32 v4, s3
	v_add_co_u32_e32 v2, vcc, s2, v2
	s_lshl_b64 s[2:3], s[4:5], 3
	v_addc_co_u32_e32 v3, vcc, v4, v3, vcc
	s_mov_b64 s[6:7], 0
	v_mov_b32_e32 v8, s5
	v_mov_b32_e32 v9, s3
	s_branch .LBB10_3
.LBB10_2:                               ;   in Loop: Header=BB10_3 Depth=1
	s_or_b64 exec, exec, s[12:13]
	v_add_co_u32_e32 v0, vcc, s4, v0
	v_addc_co_u32_e32 v1, vcc, v1, v8, vcc
	v_subrev_co_u32_e32 v6, vcc, s4, v6
	v_subb_co_u32_e32 v7, vcc, v7, v8, vcc
	v_cmp_le_i32_e32 vcc, s18, v0
	global_store_dwordx2 v[2:3], v[4:5], off
	s_or_b64 s[6:7], vcc, s[6:7]
	v_add_co_u32_e32 v2, vcc, s2, v2
	v_addc_co_u32_e32 v3, vcc, v3, v9, vcc
	s_andn2_b64 exec, exec, s[6:7]
	s_cbranch_execz .LBB10_7
.LBB10_3:                               ; =>This Inner Loop Header: Depth=1
	v_cmp_le_i64_e32 vcc, s[0:1], v[0:1]
                                        ; implicit-def: $vgpr4_vgpr5
	s_and_saveexec_b64 s[12:13], vcc
	s_xor_b64 s[12:13], exec, s[12:13]
	s_cbranch_execz .LBB10_5
; %bb.4:                                ;   in Loop: Header=BB10_3 Depth=1
	v_cvt_f64_i32_e32 v[4:5], v7
	v_cvt_f64_u32_e32 v[10:11], v6
	v_ldexp_f64 v[4:5], v[4:5], 32
	v_add_f64 v[4:5], v[4:5], v[10:11]
	v_mov_b32_e32 v10, s10
	v_mov_b32_e32 v11, s11
	v_fma_f64 v[4:5], -s[14:15], v[4:5], v[10:11]
.LBB10_5:                               ;   in Loop: Header=BB10_3 Depth=1
	s_andn2_saveexec_b64 s[12:13], s[12:13]
	s_cbranch_execz .LBB10_2
; %bb.6:                                ;   in Loop: Header=BB10_3 Depth=1
	v_cvt_f64_i32_e32 v[4:5], v0
	v_mov_b32_e32 v11, s9
	v_mov_b32_e32 v10, s8
	v_fma_f64 v[4:5], s[14:15], v[4:5], v[10:11]
	s_branch .LBB10_2
.LBB10_7:
	s_endpgm
	.section	.rodata,"a",@progbits
	.p2align	6, 0x0
	.amdhsa_kernel _ZN12_GLOBAL__N_141elementwise_kernel_with_index_grid_strideIiZZZN2at6native17linspace_cuda_outERKN3c106ScalarES6_lRNS1_6TensorEENKUlvE0_clEvENKUlvE_clEvEUllE_EEvT_T0_PN15function_traitsISD_E11result_typeE
		.amdhsa_group_segment_fixed_size 0
		.amdhsa_private_segment_fixed_size 0
		.amdhsa_kernarg_size 312
		.amdhsa_user_sgpr_count 6
		.amdhsa_user_sgpr_private_segment_buffer 1
		.amdhsa_user_sgpr_dispatch_ptr 0
		.amdhsa_user_sgpr_queue_ptr 0
		.amdhsa_user_sgpr_kernarg_segment_ptr 1
		.amdhsa_user_sgpr_dispatch_id 0
		.amdhsa_user_sgpr_flat_scratch_init 0
		.amdhsa_user_sgpr_private_segment_size 0
		.amdhsa_uses_dynamic_stack 0
		.amdhsa_system_sgpr_private_segment_wavefront_offset 0
		.amdhsa_system_sgpr_workgroup_id_x 1
		.amdhsa_system_sgpr_workgroup_id_y 0
		.amdhsa_system_sgpr_workgroup_id_z 0
		.amdhsa_system_sgpr_workgroup_info 0
		.amdhsa_system_vgpr_workitem_id 0
		.amdhsa_next_free_vgpr 12
		.amdhsa_next_free_sgpr 19
		.amdhsa_reserve_vcc 1
		.amdhsa_reserve_flat_scratch 0
		.amdhsa_float_round_mode_32 0
		.amdhsa_float_round_mode_16_64 0
		.amdhsa_float_denorm_mode_32 3
		.amdhsa_float_denorm_mode_16_64 3
		.amdhsa_dx10_clamp 1
		.amdhsa_ieee_mode 1
		.amdhsa_fp16_overflow 0
		.amdhsa_exception_fp_ieee_invalid_op 0
		.amdhsa_exception_fp_denorm_src 0
		.amdhsa_exception_fp_ieee_div_zero 0
		.amdhsa_exception_fp_ieee_overflow 0
		.amdhsa_exception_fp_ieee_underflow 0
		.amdhsa_exception_fp_ieee_inexact 0
		.amdhsa_exception_int_div_zero 0
	.end_amdhsa_kernel
	.section	.text._ZN12_GLOBAL__N_141elementwise_kernel_with_index_grid_strideIiZZZN2at6native17linspace_cuda_outERKN3c106ScalarES6_lRNS1_6TensorEENKUlvE0_clEvENKUlvE_clEvEUllE_EEvT_T0_PN15function_traitsISD_E11result_typeE,"axG",@progbits,_ZN12_GLOBAL__N_141elementwise_kernel_with_index_grid_strideIiZZZN2at6native17linspace_cuda_outERKN3c106ScalarES6_lRNS1_6TensorEENKUlvE0_clEvENKUlvE_clEvEUllE_EEvT_T0_PN15function_traitsISD_E11result_typeE,comdat
.Lfunc_end10:
	.size	_ZN12_GLOBAL__N_141elementwise_kernel_with_index_grid_strideIiZZZN2at6native17linspace_cuda_outERKN3c106ScalarES6_lRNS1_6TensorEENKUlvE0_clEvENKUlvE_clEvEUllE_EEvT_T0_PN15function_traitsISD_E11result_typeE, .Lfunc_end10-_ZN12_GLOBAL__N_141elementwise_kernel_with_index_grid_strideIiZZZN2at6native17linspace_cuda_outERKN3c106ScalarES6_lRNS1_6TensorEENKUlvE0_clEvENKUlvE_clEvEUllE_EEvT_T0_PN15function_traitsISD_E11result_typeE
                                        ; -- End function
	.set _ZN12_GLOBAL__N_141elementwise_kernel_with_index_grid_strideIiZZZN2at6native17linspace_cuda_outERKN3c106ScalarES6_lRNS1_6TensorEENKUlvE0_clEvENKUlvE_clEvEUllE_EEvT_T0_PN15function_traitsISD_E11result_typeE.num_vgpr, 12
	.set _ZN12_GLOBAL__N_141elementwise_kernel_with_index_grid_strideIiZZZN2at6native17linspace_cuda_outERKN3c106ScalarES6_lRNS1_6TensorEENKUlvE0_clEvENKUlvE_clEvEUllE_EEvT_T0_PN15function_traitsISD_E11result_typeE.num_agpr, 0
	.set _ZN12_GLOBAL__N_141elementwise_kernel_with_index_grid_strideIiZZZN2at6native17linspace_cuda_outERKN3c106ScalarES6_lRNS1_6TensorEENKUlvE0_clEvENKUlvE_clEvEUllE_EEvT_T0_PN15function_traitsISD_E11result_typeE.numbered_sgpr, 19
	.set _ZN12_GLOBAL__N_141elementwise_kernel_with_index_grid_strideIiZZZN2at6native17linspace_cuda_outERKN3c106ScalarES6_lRNS1_6TensorEENKUlvE0_clEvENKUlvE_clEvEUllE_EEvT_T0_PN15function_traitsISD_E11result_typeE.num_named_barrier, 0
	.set _ZN12_GLOBAL__N_141elementwise_kernel_with_index_grid_strideIiZZZN2at6native17linspace_cuda_outERKN3c106ScalarES6_lRNS1_6TensorEENKUlvE0_clEvENKUlvE_clEvEUllE_EEvT_T0_PN15function_traitsISD_E11result_typeE.private_seg_size, 0
	.set _ZN12_GLOBAL__N_141elementwise_kernel_with_index_grid_strideIiZZZN2at6native17linspace_cuda_outERKN3c106ScalarES6_lRNS1_6TensorEENKUlvE0_clEvENKUlvE_clEvEUllE_EEvT_T0_PN15function_traitsISD_E11result_typeE.uses_vcc, 1
	.set _ZN12_GLOBAL__N_141elementwise_kernel_with_index_grid_strideIiZZZN2at6native17linspace_cuda_outERKN3c106ScalarES6_lRNS1_6TensorEENKUlvE0_clEvENKUlvE_clEvEUllE_EEvT_T0_PN15function_traitsISD_E11result_typeE.uses_flat_scratch, 0
	.set _ZN12_GLOBAL__N_141elementwise_kernel_with_index_grid_strideIiZZZN2at6native17linspace_cuda_outERKN3c106ScalarES6_lRNS1_6TensorEENKUlvE0_clEvENKUlvE_clEvEUllE_EEvT_T0_PN15function_traitsISD_E11result_typeE.has_dyn_sized_stack, 0
	.set _ZN12_GLOBAL__N_141elementwise_kernel_with_index_grid_strideIiZZZN2at6native17linspace_cuda_outERKN3c106ScalarES6_lRNS1_6TensorEENKUlvE0_clEvENKUlvE_clEvEUllE_EEvT_T0_PN15function_traitsISD_E11result_typeE.has_recursion, 0
	.set _ZN12_GLOBAL__N_141elementwise_kernel_with_index_grid_strideIiZZZN2at6native17linspace_cuda_outERKN3c106ScalarES6_lRNS1_6TensorEENKUlvE0_clEvENKUlvE_clEvEUllE_EEvT_T0_PN15function_traitsISD_E11result_typeE.has_indirect_call, 0
	.section	.AMDGPU.csdata,"",@progbits
; Kernel info:
; codeLenInByte = 300
; TotalNumSgprs: 23
; NumVgprs: 12
; ScratchSize: 0
; MemoryBound: 0
; FloatMode: 240
; IeeeMode: 1
; LDSByteSize: 0 bytes/workgroup (compile time only)
; SGPRBlocks: 2
; VGPRBlocks: 2
; NumSGPRsForWavesPerEU: 23
; NumVGPRsForWavesPerEU: 12
; Occupancy: 10
; WaveLimiterHint : 0
; COMPUTE_PGM_RSRC2:SCRATCH_EN: 0
; COMPUTE_PGM_RSRC2:USER_SGPR: 6
; COMPUTE_PGM_RSRC2:TRAP_HANDLER: 0
; COMPUTE_PGM_RSRC2:TGID_X_EN: 1
; COMPUTE_PGM_RSRC2:TGID_Y_EN: 0
; COMPUTE_PGM_RSRC2:TGID_Z_EN: 0
; COMPUTE_PGM_RSRC2:TIDIG_COMP_CNT: 0
	.section	.text._ZN12_GLOBAL__N_141elementwise_kernel_with_index_grid_strideIlZZZN2at6native17linspace_cuda_outERKN3c106ScalarES6_lRNS1_6TensorEENKUlvE0_clEvENKUlvE_clEvEUllE_EEvT_T0_PN15function_traitsISD_E11result_typeE,"axG",@progbits,_ZN12_GLOBAL__N_141elementwise_kernel_with_index_grid_strideIlZZZN2at6native17linspace_cuda_outERKN3c106ScalarES6_lRNS1_6TensorEENKUlvE0_clEvENKUlvE_clEvEUllE_EEvT_T0_PN15function_traitsISD_E11result_typeE,comdat
	.globl	_ZN12_GLOBAL__N_141elementwise_kernel_with_index_grid_strideIlZZZN2at6native17linspace_cuda_outERKN3c106ScalarES6_lRNS1_6TensorEENKUlvE0_clEvENKUlvE_clEvEUllE_EEvT_T0_PN15function_traitsISD_E11result_typeE ; -- Begin function _ZN12_GLOBAL__N_141elementwise_kernel_with_index_grid_strideIlZZZN2at6native17linspace_cuda_outERKN3c106ScalarES6_lRNS1_6TensorEENKUlvE0_clEvENKUlvE_clEvEUllE_EEvT_T0_PN15function_traitsISD_E11result_typeE
	.p2align	8
	.type	_ZN12_GLOBAL__N_141elementwise_kernel_with_index_grid_strideIlZZZN2at6native17linspace_cuda_outERKN3c106ScalarES6_lRNS1_6TensorEENKUlvE0_clEvENKUlvE_clEvEUllE_EEvT_T0_PN15function_traitsISD_E11result_typeE,@function
_ZN12_GLOBAL__N_141elementwise_kernel_with_index_grid_strideIlZZZN2at6native17linspace_cuda_outERKN3c106ScalarES6_lRNS1_6TensorEENKUlvE0_clEvENKUlvE_clEvEUllE_EEvT_T0_PN15function_traitsISD_E11result_typeE: ; @_ZN12_GLOBAL__N_141elementwise_kernel_with_index_grid_strideIlZZZN2at6native17linspace_cuda_outERKN3c106ScalarES6_lRNS1_6TensorEENKUlvE0_clEvENKUlvE_clEvEUllE_EEvT_T0_PN15function_traitsISD_E11result_typeE
; %bb.0:
	s_load_dword s2, s[4:5], 0x44
	s_load_dwordx8 s[8:15], s[4:5], 0x0
	s_add_u32 s0, s4, 56
	s_addc_u32 s1, s5, 0
	v_mov_b32_e32 v1, 0
	s_waitcnt lgkmcnt(0)
	s_and_b32 s2, s2, 0xffff
	v_mov_b32_e32 v2, s6
	v_mad_u64_u32 v[0:1], s[6:7], s2, v2, v[0:1]
	v_cmp_gt_i64_e32 vcc, s[8:9], v[0:1]
	s_and_saveexec_b64 s[6:7], vcc
	s_cbranch_execz .LBB11_7
; %bb.1:
	s_load_dword s6, s[0:1], 0x0
	s_load_dwordx8 s[16:23], s[4:5], 0x20
	v_not_b32_e32 v3, v0
	v_not_b32_e32 v2, v1
	v_mov_b32_e32 v4, s15
	v_add_co_u32_e32 v6, vcc, s14, v3
	v_addc_co_u32_e32 v7, vcc, v2, v4, vcc
	v_lshlrev_b64 v[2:3], 3, v[0:1]
	s_waitcnt lgkmcnt(0)
	s_mul_hi_u32 s3, s2, s6
	s_mul_i32 s2, s2, s6
	v_mov_b32_e32 v4, s21
	v_add_co_u32_e32 v2, vcc, s20, v2
	s_lshl_b64 s[4:5], s[2:3], 3
	v_addc_co_u32_e32 v3, vcc, v4, v3, vcc
	s_mov_b64 s[6:7], 0
	v_mov_b32_e32 v8, s3
	v_mov_b32_e32 v9, s5
	s_branch .LBB11_3
.LBB11_2:                               ;   in Loop: Header=BB11_3 Depth=1
	s_or_b64 exec, exec, s[0:1]
	v_add_co_u32_e32 v0, vcc, s2, v0
	v_addc_co_u32_e32 v1, vcc, v1, v8, vcc
	v_cmp_le_i64_e32 vcc, s[8:9], v[0:1]
	global_store_dwordx2 v[2:3], v[4:5], off
	v_subrev_co_u32_e64 v6, s[0:1], s2, v6
	s_or_b64 s[6:7], vcc, s[6:7]
	v_add_co_u32_e32 v2, vcc, s4, v2
	v_subb_co_u32_e64 v7, s[0:1], v7, v8, s[0:1]
	v_addc_co_u32_e32 v3, vcc, v3, v9, vcc
	s_andn2_b64 exec, exec, s[6:7]
	s_cbranch_execz .LBB11_7
.LBB11_3:                               ; =>This Inner Loop Header: Depth=1
	v_cmp_le_i64_e32 vcc, s[18:19], v[0:1]
                                        ; implicit-def: $vgpr4_vgpr5
	s_and_saveexec_b64 s[0:1], vcc
	s_xor_b64 s[0:1], exec, s[0:1]
	s_cbranch_execz .LBB11_5
; %bb.4:                                ;   in Loop: Header=BB11_3 Depth=1
	v_cvt_f64_i32_e32 v[4:5], v7
	v_cvt_f64_u32_e32 v[10:11], v6
	v_ldexp_f64 v[4:5], v[4:5], 32
	v_add_f64 v[4:5], v[4:5], v[10:11]
	v_mov_b32_e32 v10, s12
	v_mov_b32_e32 v11, s13
	v_fma_f64 v[4:5], -s[16:17], v[4:5], v[10:11]
.LBB11_5:                               ;   in Loop: Header=BB11_3 Depth=1
	s_andn2_saveexec_b64 s[0:1], s[0:1]
	s_cbranch_execz .LBB11_2
; %bb.6:                                ;   in Loop: Header=BB11_3 Depth=1
	v_cvt_f64_u32_e32 v[4:5], v1
	v_cvt_f64_u32_e32 v[10:11], v0
	v_ldexp_f64 v[4:5], v[4:5], 32
	v_add_f64 v[4:5], v[4:5], v[10:11]
	v_mov_b32_e32 v10, s10
	v_mov_b32_e32 v11, s11
	v_fma_f64 v[4:5], s[16:17], v[4:5], v[10:11]
	s_branch .LBB11_2
.LBB11_7:
	s_endpgm
	.section	.rodata,"a",@progbits
	.p2align	6, 0x0
	.amdhsa_kernel _ZN12_GLOBAL__N_141elementwise_kernel_with_index_grid_strideIlZZZN2at6native17linspace_cuda_outERKN3c106ScalarES6_lRNS1_6TensorEENKUlvE0_clEvENKUlvE_clEvEUllE_EEvT_T0_PN15function_traitsISD_E11result_typeE
		.amdhsa_group_segment_fixed_size 0
		.amdhsa_private_segment_fixed_size 0
		.amdhsa_kernarg_size 312
		.amdhsa_user_sgpr_count 6
		.amdhsa_user_sgpr_private_segment_buffer 1
		.amdhsa_user_sgpr_dispatch_ptr 0
		.amdhsa_user_sgpr_queue_ptr 0
		.amdhsa_user_sgpr_kernarg_segment_ptr 1
		.amdhsa_user_sgpr_dispatch_id 0
		.amdhsa_user_sgpr_flat_scratch_init 0
		.amdhsa_user_sgpr_private_segment_size 0
		.amdhsa_uses_dynamic_stack 0
		.amdhsa_system_sgpr_private_segment_wavefront_offset 0
		.amdhsa_system_sgpr_workgroup_id_x 1
		.amdhsa_system_sgpr_workgroup_id_y 0
		.amdhsa_system_sgpr_workgroup_id_z 0
		.amdhsa_system_sgpr_workgroup_info 0
		.amdhsa_system_vgpr_workitem_id 0
		.amdhsa_next_free_vgpr 12
		.amdhsa_next_free_sgpr 24
		.amdhsa_reserve_vcc 1
		.amdhsa_reserve_flat_scratch 0
		.amdhsa_float_round_mode_32 0
		.amdhsa_float_round_mode_16_64 0
		.amdhsa_float_denorm_mode_32 3
		.amdhsa_float_denorm_mode_16_64 3
		.amdhsa_dx10_clamp 1
		.amdhsa_ieee_mode 1
		.amdhsa_fp16_overflow 0
		.amdhsa_exception_fp_ieee_invalid_op 0
		.amdhsa_exception_fp_denorm_src 0
		.amdhsa_exception_fp_ieee_div_zero 0
		.amdhsa_exception_fp_ieee_overflow 0
		.amdhsa_exception_fp_ieee_underflow 0
		.amdhsa_exception_fp_ieee_inexact 0
		.amdhsa_exception_int_div_zero 0
	.end_amdhsa_kernel
	.section	.text._ZN12_GLOBAL__N_141elementwise_kernel_with_index_grid_strideIlZZZN2at6native17linspace_cuda_outERKN3c106ScalarES6_lRNS1_6TensorEENKUlvE0_clEvENKUlvE_clEvEUllE_EEvT_T0_PN15function_traitsISD_E11result_typeE,"axG",@progbits,_ZN12_GLOBAL__N_141elementwise_kernel_with_index_grid_strideIlZZZN2at6native17linspace_cuda_outERKN3c106ScalarES6_lRNS1_6TensorEENKUlvE0_clEvENKUlvE_clEvEUllE_EEvT_T0_PN15function_traitsISD_E11result_typeE,comdat
.Lfunc_end11:
	.size	_ZN12_GLOBAL__N_141elementwise_kernel_with_index_grid_strideIlZZZN2at6native17linspace_cuda_outERKN3c106ScalarES6_lRNS1_6TensorEENKUlvE0_clEvENKUlvE_clEvEUllE_EEvT_T0_PN15function_traitsISD_E11result_typeE, .Lfunc_end11-_ZN12_GLOBAL__N_141elementwise_kernel_with_index_grid_strideIlZZZN2at6native17linspace_cuda_outERKN3c106ScalarES6_lRNS1_6TensorEENKUlvE0_clEvENKUlvE_clEvEUllE_EEvT_T0_PN15function_traitsISD_E11result_typeE
                                        ; -- End function
	.set _ZN12_GLOBAL__N_141elementwise_kernel_with_index_grid_strideIlZZZN2at6native17linspace_cuda_outERKN3c106ScalarES6_lRNS1_6TensorEENKUlvE0_clEvENKUlvE_clEvEUllE_EEvT_T0_PN15function_traitsISD_E11result_typeE.num_vgpr, 12
	.set _ZN12_GLOBAL__N_141elementwise_kernel_with_index_grid_strideIlZZZN2at6native17linspace_cuda_outERKN3c106ScalarES6_lRNS1_6TensorEENKUlvE0_clEvENKUlvE_clEvEUllE_EEvT_T0_PN15function_traitsISD_E11result_typeE.num_agpr, 0
	.set _ZN12_GLOBAL__N_141elementwise_kernel_with_index_grid_strideIlZZZN2at6native17linspace_cuda_outERKN3c106ScalarES6_lRNS1_6TensorEENKUlvE0_clEvENKUlvE_clEvEUllE_EEvT_T0_PN15function_traitsISD_E11result_typeE.numbered_sgpr, 24
	.set _ZN12_GLOBAL__N_141elementwise_kernel_with_index_grid_strideIlZZZN2at6native17linspace_cuda_outERKN3c106ScalarES6_lRNS1_6TensorEENKUlvE0_clEvENKUlvE_clEvEUllE_EEvT_T0_PN15function_traitsISD_E11result_typeE.num_named_barrier, 0
	.set _ZN12_GLOBAL__N_141elementwise_kernel_with_index_grid_strideIlZZZN2at6native17linspace_cuda_outERKN3c106ScalarES6_lRNS1_6TensorEENKUlvE0_clEvENKUlvE_clEvEUllE_EEvT_T0_PN15function_traitsISD_E11result_typeE.private_seg_size, 0
	.set _ZN12_GLOBAL__N_141elementwise_kernel_with_index_grid_strideIlZZZN2at6native17linspace_cuda_outERKN3c106ScalarES6_lRNS1_6TensorEENKUlvE0_clEvENKUlvE_clEvEUllE_EEvT_T0_PN15function_traitsISD_E11result_typeE.uses_vcc, 1
	.set _ZN12_GLOBAL__N_141elementwise_kernel_with_index_grid_strideIlZZZN2at6native17linspace_cuda_outERKN3c106ScalarES6_lRNS1_6TensorEENKUlvE0_clEvENKUlvE_clEvEUllE_EEvT_T0_PN15function_traitsISD_E11result_typeE.uses_flat_scratch, 0
	.set _ZN12_GLOBAL__N_141elementwise_kernel_with_index_grid_strideIlZZZN2at6native17linspace_cuda_outERKN3c106ScalarES6_lRNS1_6TensorEENKUlvE0_clEvENKUlvE_clEvEUllE_EEvT_T0_PN15function_traitsISD_E11result_typeE.has_dyn_sized_stack, 0
	.set _ZN12_GLOBAL__N_141elementwise_kernel_with_index_grid_strideIlZZZN2at6native17linspace_cuda_outERKN3c106ScalarES6_lRNS1_6TensorEENKUlvE0_clEvENKUlvE_clEvEUllE_EEvT_T0_PN15function_traitsISD_E11result_typeE.has_recursion, 0
	.set _ZN12_GLOBAL__N_141elementwise_kernel_with_index_grid_strideIlZZZN2at6native17linspace_cuda_outERKN3c106ScalarES6_lRNS1_6TensorEENKUlvE0_clEvENKUlvE_clEvEUllE_EEvT_T0_PN15function_traitsISD_E11result_typeE.has_indirect_call, 0
	.section	.AMDGPU.csdata,"",@progbits
; Kernel info:
; codeLenInByte = 324
; TotalNumSgprs: 28
; NumVgprs: 12
; ScratchSize: 0
; MemoryBound: 0
; FloatMode: 240
; IeeeMode: 1
; LDSByteSize: 0 bytes/workgroup (compile time only)
; SGPRBlocks: 3
; VGPRBlocks: 2
; NumSGPRsForWavesPerEU: 28
; NumVGPRsForWavesPerEU: 12
; Occupancy: 10
; WaveLimiterHint : 0
; COMPUTE_PGM_RSRC2:SCRATCH_EN: 0
; COMPUTE_PGM_RSRC2:USER_SGPR: 6
; COMPUTE_PGM_RSRC2:TRAP_HANDLER: 0
; COMPUTE_PGM_RSRC2:TGID_X_EN: 1
; COMPUTE_PGM_RSRC2:TGID_Y_EN: 0
; COMPUTE_PGM_RSRC2:TGID_Z_EN: 0
; COMPUTE_PGM_RSRC2:TIDIG_COMP_CNT: 0
	.section	.text._ZN12_GLOBAL__N_141elementwise_kernel_with_index_grid_strideIiZZZN2at6native17linspace_cuda_outERKN3c106ScalarES6_lRNS1_6TensorEENKUlvE0_clEvENKUlvE0_clEvEUllE_EEvT_T0_PN15function_traitsISD_E11result_typeE,"axG",@progbits,_ZN12_GLOBAL__N_141elementwise_kernel_with_index_grid_strideIiZZZN2at6native17linspace_cuda_outERKN3c106ScalarES6_lRNS1_6TensorEENKUlvE0_clEvENKUlvE0_clEvEUllE_EEvT_T0_PN15function_traitsISD_E11result_typeE,comdat
	.globl	_ZN12_GLOBAL__N_141elementwise_kernel_with_index_grid_strideIiZZZN2at6native17linspace_cuda_outERKN3c106ScalarES6_lRNS1_6TensorEENKUlvE0_clEvENKUlvE0_clEvEUllE_EEvT_T0_PN15function_traitsISD_E11result_typeE ; -- Begin function _ZN12_GLOBAL__N_141elementwise_kernel_with_index_grid_strideIiZZZN2at6native17linspace_cuda_outERKN3c106ScalarES6_lRNS1_6TensorEENKUlvE0_clEvENKUlvE0_clEvEUllE_EEvT_T0_PN15function_traitsISD_E11result_typeE
	.p2align	8
	.type	_ZN12_GLOBAL__N_141elementwise_kernel_with_index_grid_strideIiZZZN2at6native17linspace_cuda_outERKN3c106ScalarES6_lRNS1_6TensorEENKUlvE0_clEvENKUlvE0_clEvEUllE_EEvT_T0_PN15function_traitsISD_E11result_typeE,@function
_ZN12_GLOBAL__N_141elementwise_kernel_with_index_grid_strideIiZZZN2at6native17linspace_cuda_outERKN3c106ScalarES6_lRNS1_6TensorEENKUlvE0_clEvENKUlvE0_clEvEUllE_EEvT_T0_PN15function_traitsISD_E11result_typeE: ; @_ZN12_GLOBAL__N_141elementwise_kernel_with_index_grid_strideIiZZZN2at6native17linspace_cuda_outERKN3c106ScalarES6_lRNS1_6TensorEENKUlvE0_clEvENKUlvE0_clEvEUllE_EEvT_T0_PN15function_traitsISD_E11result_typeE
; %bb.0:
	s_load_dword s0, s[4:5], 0x3c
	s_load_dword s14, s[4:5], 0x0
	s_add_u32 s12, s4, 48
	s_addc_u32 s13, s5, 0
	s_waitcnt lgkmcnt(0)
	s_and_b32 s7, s0, 0xffff
	s_mul_i32 s6, s6, s7
	v_add_u32_e32 v0, s6, v0
	v_cmp_gt_i32_e32 vcc, s14, v0
	s_and_saveexec_b64 s[0:1], vcc
	s_cbranch_execz .LBB12_7
; %bb.1:
	s_load_dword s6, s[12:13], 0x0
	s_load_dwordx4 s[0:3], s[4:5], 0x8
	s_load_dword s15, s[4:5], 0x18
	s_load_dwordx4 s[8:11], s[4:5], 0x20
	v_ashrrev_i32_e32 v1, 31, v0
	v_not_b32_e32 v2, v0
	v_not_b32_e32 v3, v1
	s_waitcnt lgkmcnt(0)
	v_mov_b32_e32 v4, s3
	v_add_co_u32_e32 v2, vcc, s2, v2
	s_mul_i32 s4, s6, s7
	v_addc_co_u32_e32 v3, vcc, v3, v4, vcc
	v_lshlrev_b64 v[4:5], 2, v[0:1]
	s_ashr_i32 s5, s4, 31
	v_mov_b32_e32 v6, s11
	v_add_co_u32_e32 v4, vcc, s10, v4
	s_lshl_b64 s[2:3], s[4:5], 2
	v_addc_co_u32_e32 v5, vcc, v6, v5, vcc
	s_mov_b64 s[6:7], 0
	v_mov_b32_e32 v6, s5
	v_mov_b32_e32 v7, s3
	s_branch .LBB12_3
.LBB12_2:                               ;   in Loop: Header=BB12_3 Depth=1
	s_or_b64 exec, exec, s[10:11]
	v_add_co_u32_e32 v0, vcc, s4, v0
	v_addc_co_u32_e32 v1, vcc, v1, v6, vcc
	v_subrev_co_u32_e32 v2, vcc, s4, v2
	v_subb_co_u32_e32 v3, vcc, v3, v6, vcc
	v_cmp_le_i32_e32 vcc, s14, v0
	global_store_dword v[4:5], v8, off
	s_or_b64 s[6:7], vcc, s[6:7]
	v_add_co_u32_e32 v4, vcc, s2, v4
	v_addc_co_u32_e32 v5, vcc, v5, v7, vcc
	s_andn2_b64 exec, exec, s[6:7]
	s_cbranch_execz .LBB12_7
.LBB12_3:                               ; =>This Inner Loop Header: Depth=1
	v_cmp_le_i64_e32 vcc, s[8:9], v[0:1]
                                        ; implicit-def: $vgpr8
	s_and_saveexec_b64 s[10:11], vcc
	s_xor_b64 s[10:11], exec, s[10:11]
	s_cbranch_execz .LBB12_5
; %bb.4:                                ;   in Loop: Header=BB12_3 Depth=1
	v_xor_b32_e32 v9, v2, v3
	v_ffbh_i32_e32 v8, v3
	v_ashrrev_i32_e32 v9, 31, v9
	v_add_u32_e32 v8, -1, v8
	v_add_u32_e32 v9, 32, v9
	v_min_u32_e32 v10, v8, v9
	v_lshlrev_b64 v[8:9], v10, v[2:3]
	v_min_u32_e32 v8, 1, v8
	v_or_b32_e32 v8, v9, v8
	v_cvt_f32_i32_e32 v8, v8
	v_sub_u32_e32 v9, 32, v10
	v_ldexp_f32 v8, v8, v9
	v_mov_b32_e32 v9, s1
	v_fma_f32 v8, -s15, v8, v9
.LBB12_5:                               ;   in Loop: Header=BB12_3 Depth=1
	s_andn2_saveexec_b64 s[10:11], s[10:11]
	s_cbranch_execz .LBB12_2
; %bb.6:                                ;   in Loop: Header=BB12_3 Depth=1
	v_cvt_f32_i32_e32 v8, v0
	v_mov_b32_e32 v9, s0
	v_fma_f32 v8, s15, v8, v9
	s_branch .LBB12_2
.LBB12_7:
	s_endpgm
	.section	.rodata,"a",@progbits
	.p2align	6, 0x0
	.amdhsa_kernel _ZN12_GLOBAL__N_141elementwise_kernel_with_index_grid_strideIiZZZN2at6native17linspace_cuda_outERKN3c106ScalarES6_lRNS1_6TensorEENKUlvE0_clEvENKUlvE0_clEvEUllE_EEvT_T0_PN15function_traitsISD_E11result_typeE
		.amdhsa_group_segment_fixed_size 0
		.amdhsa_private_segment_fixed_size 0
		.amdhsa_kernarg_size 304
		.amdhsa_user_sgpr_count 6
		.amdhsa_user_sgpr_private_segment_buffer 1
		.amdhsa_user_sgpr_dispatch_ptr 0
		.amdhsa_user_sgpr_queue_ptr 0
		.amdhsa_user_sgpr_kernarg_segment_ptr 1
		.amdhsa_user_sgpr_dispatch_id 0
		.amdhsa_user_sgpr_flat_scratch_init 0
		.amdhsa_user_sgpr_private_segment_size 0
		.amdhsa_uses_dynamic_stack 0
		.amdhsa_system_sgpr_private_segment_wavefront_offset 0
		.amdhsa_system_sgpr_workgroup_id_x 1
		.amdhsa_system_sgpr_workgroup_id_y 0
		.amdhsa_system_sgpr_workgroup_id_z 0
		.amdhsa_system_sgpr_workgroup_info 0
		.amdhsa_system_vgpr_workitem_id 0
		.amdhsa_next_free_vgpr 11
		.amdhsa_next_free_sgpr 16
		.amdhsa_reserve_vcc 1
		.amdhsa_reserve_flat_scratch 0
		.amdhsa_float_round_mode_32 0
		.amdhsa_float_round_mode_16_64 0
		.amdhsa_float_denorm_mode_32 3
		.amdhsa_float_denorm_mode_16_64 3
		.amdhsa_dx10_clamp 1
		.amdhsa_ieee_mode 1
		.amdhsa_fp16_overflow 0
		.amdhsa_exception_fp_ieee_invalid_op 0
		.amdhsa_exception_fp_denorm_src 0
		.amdhsa_exception_fp_ieee_div_zero 0
		.amdhsa_exception_fp_ieee_overflow 0
		.amdhsa_exception_fp_ieee_underflow 0
		.amdhsa_exception_fp_ieee_inexact 0
		.amdhsa_exception_int_div_zero 0
	.end_amdhsa_kernel
	.section	.text._ZN12_GLOBAL__N_141elementwise_kernel_with_index_grid_strideIiZZZN2at6native17linspace_cuda_outERKN3c106ScalarES6_lRNS1_6TensorEENKUlvE0_clEvENKUlvE0_clEvEUllE_EEvT_T0_PN15function_traitsISD_E11result_typeE,"axG",@progbits,_ZN12_GLOBAL__N_141elementwise_kernel_with_index_grid_strideIiZZZN2at6native17linspace_cuda_outERKN3c106ScalarES6_lRNS1_6TensorEENKUlvE0_clEvENKUlvE0_clEvEUllE_EEvT_T0_PN15function_traitsISD_E11result_typeE,comdat
.Lfunc_end12:
	.size	_ZN12_GLOBAL__N_141elementwise_kernel_with_index_grid_strideIiZZZN2at6native17linspace_cuda_outERKN3c106ScalarES6_lRNS1_6TensorEENKUlvE0_clEvENKUlvE0_clEvEUllE_EEvT_T0_PN15function_traitsISD_E11result_typeE, .Lfunc_end12-_ZN12_GLOBAL__N_141elementwise_kernel_with_index_grid_strideIiZZZN2at6native17linspace_cuda_outERKN3c106ScalarES6_lRNS1_6TensorEENKUlvE0_clEvENKUlvE0_clEvEUllE_EEvT_T0_PN15function_traitsISD_E11result_typeE
                                        ; -- End function
	.set _ZN12_GLOBAL__N_141elementwise_kernel_with_index_grid_strideIiZZZN2at6native17linspace_cuda_outERKN3c106ScalarES6_lRNS1_6TensorEENKUlvE0_clEvENKUlvE0_clEvEUllE_EEvT_T0_PN15function_traitsISD_E11result_typeE.num_vgpr, 11
	.set _ZN12_GLOBAL__N_141elementwise_kernel_with_index_grid_strideIiZZZN2at6native17linspace_cuda_outERKN3c106ScalarES6_lRNS1_6TensorEENKUlvE0_clEvENKUlvE0_clEvEUllE_EEvT_T0_PN15function_traitsISD_E11result_typeE.num_agpr, 0
	.set _ZN12_GLOBAL__N_141elementwise_kernel_with_index_grid_strideIiZZZN2at6native17linspace_cuda_outERKN3c106ScalarES6_lRNS1_6TensorEENKUlvE0_clEvENKUlvE0_clEvEUllE_EEvT_T0_PN15function_traitsISD_E11result_typeE.numbered_sgpr, 16
	.set _ZN12_GLOBAL__N_141elementwise_kernel_with_index_grid_strideIiZZZN2at6native17linspace_cuda_outERKN3c106ScalarES6_lRNS1_6TensorEENKUlvE0_clEvENKUlvE0_clEvEUllE_EEvT_T0_PN15function_traitsISD_E11result_typeE.num_named_barrier, 0
	.set _ZN12_GLOBAL__N_141elementwise_kernel_with_index_grid_strideIiZZZN2at6native17linspace_cuda_outERKN3c106ScalarES6_lRNS1_6TensorEENKUlvE0_clEvENKUlvE0_clEvEUllE_EEvT_T0_PN15function_traitsISD_E11result_typeE.private_seg_size, 0
	.set _ZN12_GLOBAL__N_141elementwise_kernel_with_index_grid_strideIiZZZN2at6native17linspace_cuda_outERKN3c106ScalarES6_lRNS1_6TensorEENKUlvE0_clEvENKUlvE0_clEvEUllE_EEvT_T0_PN15function_traitsISD_E11result_typeE.uses_vcc, 1
	.set _ZN12_GLOBAL__N_141elementwise_kernel_with_index_grid_strideIiZZZN2at6native17linspace_cuda_outERKN3c106ScalarES6_lRNS1_6TensorEENKUlvE0_clEvENKUlvE0_clEvEUllE_EEvT_T0_PN15function_traitsISD_E11result_typeE.uses_flat_scratch, 0
	.set _ZN12_GLOBAL__N_141elementwise_kernel_with_index_grid_strideIiZZZN2at6native17linspace_cuda_outERKN3c106ScalarES6_lRNS1_6TensorEENKUlvE0_clEvENKUlvE0_clEvEUllE_EEvT_T0_PN15function_traitsISD_E11result_typeE.has_dyn_sized_stack, 0
	.set _ZN12_GLOBAL__N_141elementwise_kernel_with_index_grid_strideIiZZZN2at6native17linspace_cuda_outERKN3c106ScalarES6_lRNS1_6TensorEENKUlvE0_clEvENKUlvE0_clEvEUllE_EEvT_T0_PN15function_traitsISD_E11result_typeE.has_recursion, 0
	.set _ZN12_GLOBAL__N_141elementwise_kernel_with_index_grid_strideIiZZZN2at6native17linspace_cuda_outERKN3c106ScalarES6_lRNS1_6TensorEENKUlvE0_clEvENKUlvE0_clEvEUllE_EEvT_T0_PN15function_traitsISD_E11result_typeE.has_indirect_call, 0
	.section	.AMDGPU.csdata,"",@progbits
; Kernel info:
; codeLenInByte = 332
; TotalNumSgprs: 20
; NumVgprs: 11
; ScratchSize: 0
; MemoryBound: 0
; FloatMode: 240
; IeeeMode: 1
; LDSByteSize: 0 bytes/workgroup (compile time only)
; SGPRBlocks: 2
; VGPRBlocks: 2
; NumSGPRsForWavesPerEU: 20
; NumVGPRsForWavesPerEU: 11
; Occupancy: 10
; WaveLimiterHint : 0
; COMPUTE_PGM_RSRC2:SCRATCH_EN: 0
; COMPUTE_PGM_RSRC2:USER_SGPR: 6
; COMPUTE_PGM_RSRC2:TRAP_HANDLER: 0
; COMPUTE_PGM_RSRC2:TGID_X_EN: 1
; COMPUTE_PGM_RSRC2:TGID_Y_EN: 0
; COMPUTE_PGM_RSRC2:TGID_Z_EN: 0
; COMPUTE_PGM_RSRC2:TIDIG_COMP_CNT: 0
	.section	.text._ZN12_GLOBAL__N_141elementwise_kernel_with_index_grid_strideIlZZZN2at6native17linspace_cuda_outERKN3c106ScalarES6_lRNS1_6TensorEENKUlvE0_clEvENKUlvE0_clEvEUllE_EEvT_T0_PN15function_traitsISD_E11result_typeE,"axG",@progbits,_ZN12_GLOBAL__N_141elementwise_kernel_with_index_grid_strideIlZZZN2at6native17linspace_cuda_outERKN3c106ScalarES6_lRNS1_6TensorEENKUlvE0_clEvENKUlvE0_clEvEUllE_EEvT_T0_PN15function_traitsISD_E11result_typeE,comdat
	.globl	_ZN12_GLOBAL__N_141elementwise_kernel_with_index_grid_strideIlZZZN2at6native17linspace_cuda_outERKN3c106ScalarES6_lRNS1_6TensorEENKUlvE0_clEvENKUlvE0_clEvEUllE_EEvT_T0_PN15function_traitsISD_E11result_typeE ; -- Begin function _ZN12_GLOBAL__N_141elementwise_kernel_with_index_grid_strideIlZZZN2at6native17linspace_cuda_outERKN3c106ScalarES6_lRNS1_6TensorEENKUlvE0_clEvENKUlvE0_clEvEUllE_EEvT_T0_PN15function_traitsISD_E11result_typeE
	.p2align	8
	.type	_ZN12_GLOBAL__N_141elementwise_kernel_with_index_grid_strideIlZZZN2at6native17linspace_cuda_outERKN3c106ScalarES6_lRNS1_6TensorEENKUlvE0_clEvENKUlvE0_clEvEUllE_EEvT_T0_PN15function_traitsISD_E11result_typeE,@function
_ZN12_GLOBAL__N_141elementwise_kernel_with_index_grid_strideIlZZZN2at6native17linspace_cuda_outERKN3c106ScalarES6_lRNS1_6TensorEENKUlvE0_clEvENKUlvE0_clEvEUllE_EEvT_T0_PN15function_traitsISD_E11result_typeE: ; @_ZN12_GLOBAL__N_141elementwise_kernel_with_index_grid_strideIlZZZN2at6native17linspace_cuda_outERKN3c106ScalarES6_lRNS1_6TensorEENKUlvE0_clEvENKUlvE0_clEvEUllE_EEvT_T0_PN15function_traitsISD_E11result_typeE
; %bb.0:
	s_load_dword s7, s[4:5], 0x3c
	s_load_dwordx2 s[2:3], s[4:5], 0x0
	s_add_u32 s0, s4, 48
	s_addc_u32 s1, s5, 0
	v_mov_b32_e32 v1, 0
	s_waitcnt lgkmcnt(0)
	s_and_b32 s7, s7, 0xffff
	v_mov_b32_e32 v2, s6
	v_mad_u64_u32 v[0:1], s[8:9], s7, v2, v[0:1]
	v_cmp_gt_i64_e32 vcc, s[2:3], v[0:1]
	s_and_saveexec_b64 s[8:9], vcc
	s_cbranch_execz .LBB13_7
; %bb.1:
	s_load_dword s6, s[0:1], 0x0
	s_load_dwordx4 s[8:11], s[4:5], 0x8
	s_load_dword s16, s[4:5], 0x18
	s_load_dwordx4 s[12:15], s[4:5], 0x20
	v_not_b32_e32 v2, v0
	v_not_b32_e32 v3, v1
	s_waitcnt lgkmcnt(0)
	v_mov_b32_e32 v4, s11
	v_add_co_u32_e32 v2, vcc, s10, v2
	v_addc_co_u32_e32 v3, vcc, v3, v4, vcc
	v_lshlrev_b64 v[4:5], 2, v[0:1]
	s_mul_hi_u32 s5, s7, s6
	s_mul_i32 s4, s7, s6
	v_mov_b32_e32 v6, s15
	v_add_co_u32_e32 v4, vcc, s14, v4
	s_lshl_b64 s[6:7], s[4:5], 2
	v_addc_co_u32_e32 v5, vcc, v6, v5, vcc
	s_mov_b64 s[10:11], 0
	v_mov_b32_e32 v6, s5
	v_mov_b32_e32 v7, s7
	s_branch .LBB13_3
.LBB13_2:                               ;   in Loop: Header=BB13_3 Depth=1
	s_or_b64 exec, exec, s[0:1]
	v_add_co_u32_e32 v0, vcc, s4, v0
	v_addc_co_u32_e32 v1, vcc, v1, v6, vcc
	v_cmp_le_i64_e32 vcc, s[2:3], v[0:1]
	global_store_dword v[4:5], v8, off
	v_subrev_co_u32_e64 v2, s[0:1], s4, v2
	s_or_b64 s[10:11], vcc, s[10:11]
	v_add_co_u32_e32 v4, vcc, s6, v4
	v_subb_co_u32_e64 v3, s[0:1], v3, v6, s[0:1]
	v_addc_co_u32_e32 v5, vcc, v5, v7, vcc
	s_andn2_b64 exec, exec, s[10:11]
	s_cbranch_execz .LBB13_7
.LBB13_3:                               ; =>This Inner Loop Header: Depth=1
	v_cmp_le_i64_e32 vcc, s[12:13], v[0:1]
                                        ; implicit-def: $vgpr8
	s_and_saveexec_b64 s[0:1], vcc
	s_xor_b64 s[0:1], exec, s[0:1]
	s_cbranch_execz .LBB13_5
; %bb.4:                                ;   in Loop: Header=BB13_3 Depth=1
	v_xor_b32_e32 v9, v2, v3
	v_ffbh_i32_e32 v8, v3
	v_ashrrev_i32_e32 v9, 31, v9
	v_add_u32_e32 v8, -1, v8
	v_add_u32_e32 v9, 32, v9
	v_min_u32_e32 v10, v8, v9
	v_lshlrev_b64 v[8:9], v10, v[2:3]
	v_min_u32_e32 v8, 1, v8
	v_or_b32_e32 v8, v9, v8
	v_cvt_f32_i32_e32 v8, v8
	v_sub_u32_e32 v9, 32, v10
	v_ldexp_f32 v8, v8, v9
	v_mov_b32_e32 v9, s9
	v_fma_f32 v8, -s16, v8, v9
.LBB13_5:                               ;   in Loop: Header=BB13_3 Depth=1
	s_andn2_saveexec_b64 s[0:1], s[0:1]
	s_cbranch_execz .LBB13_2
; %bb.6:                                ;   in Loop: Header=BB13_3 Depth=1
	v_ffbh_u32_e32 v8, v1
	v_min_u32_e32 v10, 32, v8
	v_lshlrev_b64 v[8:9], v10, v[0:1]
	v_min_u32_e32 v8, 1, v8
	v_or_b32_e32 v8, v9, v8
	v_cvt_f32_u32_e32 v8, v8
	v_sub_u32_e32 v9, 32, v10
	v_ldexp_f32 v8, v8, v9
	v_mov_b32_e32 v9, s8
	v_fma_f32 v8, s16, v8, v9
	s_branch .LBB13_2
.LBB13_7:
	s_endpgm
	.section	.rodata,"a",@progbits
	.p2align	6, 0x0
	.amdhsa_kernel _ZN12_GLOBAL__N_141elementwise_kernel_with_index_grid_strideIlZZZN2at6native17linspace_cuda_outERKN3c106ScalarES6_lRNS1_6TensorEENKUlvE0_clEvENKUlvE0_clEvEUllE_EEvT_T0_PN15function_traitsISD_E11result_typeE
		.amdhsa_group_segment_fixed_size 0
		.amdhsa_private_segment_fixed_size 0
		.amdhsa_kernarg_size 304
		.amdhsa_user_sgpr_count 6
		.amdhsa_user_sgpr_private_segment_buffer 1
		.amdhsa_user_sgpr_dispatch_ptr 0
		.amdhsa_user_sgpr_queue_ptr 0
		.amdhsa_user_sgpr_kernarg_segment_ptr 1
		.amdhsa_user_sgpr_dispatch_id 0
		.amdhsa_user_sgpr_flat_scratch_init 0
		.amdhsa_user_sgpr_private_segment_size 0
		.amdhsa_uses_dynamic_stack 0
		.amdhsa_system_sgpr_private_segment_wavefront_offset 0
		.amdhsa_system_sgpr_workgroup_id_x 1
		.amdhsa_system_sgpr_workgroup_id_y 0
		.amdhsa_system_sgpr_workgroup_id_z 0
		.amdhsa_system_sgpr_workgroup_info 0
		.amdhsa_system_vgpr_workitem_id 0
		.amdhsa_next_free_vgpr 11
		.amdhsa_next_free_sgpr 17
		.amdhsa_reserve_vcc 1
		.amdhsa_reserve_flat_scratch 0
		.amdhsa_float_round_mode_32 0
		.amdhsa_float_round_mode_16_64 0
		.amdhsa_float_denorm_mode_32 3
		.amdhsa_float_denorm_mode_16_64 3
		.amdhsa_dx10_clamp 1
		.amdhsa_ieee_mode 1
		.amdhsa_fp16_overflow 0
		.amdhsa_exception_fp_ieee_invalid_op 0
		.amdhsa_exception_fp_denorm_src 0
		.amdhsa_exception_fp_ieee_div_zero 0
		.amdhsa_exception_fp_ieee_overflow 0
		.amdhsa_exception_fp_ieee_underflow 0
		.amdhsa_exception_fp_ieee_inexact 0
		.amdhsa_exception_int_div_zero 0
	.end_amdhsa_kernel
	.section	.text._ZN12_GLOBAL__N_141elementwise_kernel_with_index_grid_strideIlZZZN2at6native17linspace_cuda_outERKN3c106ScalarES6_lRNS1_6TensorEENKUlvE0_clEvENKUlvE0_clEvEUllE_EEvT_T0_PN15function_traitsISD_E11result_typeE,"axG",@progbits,_ZN12_GLOBAL__N_141elementwise_kernel_with_index_grid_strideIlZZZN2at6native17linspace_cuda_outERKN3c106ScalarES6_lRNS1_6TensorEENKUlvE0_clEvENKUlvE0_clEvEUllE_EEvT_T0_PN15function_traitsISD_E11result_typeE,comdat
.Lfunc_end13:
	.size	_ZN12_GLOBAL__N_141elementwise_kernel_with_index_grid_strideIlZZZN2at6native17linspace_cuda_outERKN3c106ScalarES6_lRNS1_6TensorEENKUlvE0_clEvENKUlvE0_clEvEUllE_EEvT_T0_PN15function_traitsISD_E11result_typeE, .Lfunc_end13-_ZN12_GLOBAL__N_141elementwise_kernel_with_index_grid_strideIlZZZN2at6native17linspace_cuda_outERKN3c106ScalarES6_lRNS1_6TensorEENKUlvE0_clEvENKUlvE0_clEvEUllE_EEvT_T0_PN15function_traitsISD_E11result_typeE
                                        ; -- End function
	.set _ZN12_GLOBAL__N_141elementwise_kernel_with_index_grid_strideIlZZZN2at6native17linspace_cuda_outERKN3c106ScalarES6_lRNS1_6TensorEENKUlvE0_clEvENKUlvE0_clEvEUllE_EEvT_T0_PN15function_traitsISD_E11result_typeE.num_vgpr, 11
	.set _ZN12_GLOBAL__N_141elementwise_kernel_with_index_grid_strideIlZZZN2at6native17linspace_cuda_outERKN3c106ScalarES6_lRNS1_6TensorEENKUlvE0_clEvENKUlvE0_clEvEUllE_EEvT_T0_PN15function_traitsISD_E11result_typeE.num_agpr, 0
	.set _ZN12_GLOBAL__N_141elementwise_kernel_with_index_grid_strideIlZZZN2at6native17linspace_cuda_outERKN3c106ScalarES6_lRNS1_6TensorEENKUlvE0_clEvENKUlvE0_clEvEUllE_EEvT_T0_PN15function_traitsISD_E11result_typeE.numbered_sgpr, 17
	.set _ZN12_GLOBAL__N_141elementwise_kernel_with_index_grid_strideIlZZZN2at6native17linspace_cuda_outERKN3c106ScalarES6_lRNS1_6TensorEENKUlvE0_clEvENKUlvE0_clEvEUllE_EEvT_T0_PN15function_traitsISD_E11result_typeE.num_named_barrier, 0
	.set _ZN12_GLOBAL__N_141elementwise_kernel_with_index_grid_strideIlZZZN2at6native17linspace_cuda_outERKN3c106ScalarES6_lRNS1_6TensorEENKUlvE0_clEvENKUlvE0_clEvEUllE_EEvT_T0_PN15function_traitsISD_E11result_typeE.private_seg_size, 0
	.set _ZN12_GLOBAL__N_141elementwise_kernel_with_index_grid_strideIlZZZN2at6native17linspace_cuda_outERKN3c106ScalarES6_lRNS1_6TensorEENKUlvE0_clEvENKUlvE0_clEvEUllE_EEvT_T0_PN15function_traitsISD_E11result_typeE.uses_vcc, 1
	.set _ZN12_GLOBAL__N_141elementwise_kernel_with_index_grid_strideIlZZZN2at6native17linspace_cuda_outERKN3c106ScalarES6_lRNS1_6TensorEENKUlvE0_clEvENKUlvE0_clEvEUllE_EEvT_T0_PN15function_traitsISD_E11result_typeE.uses_flat_scratch, 0
	.set _ZN12_GLOBAL__N_141elementwise_kernel_with_index_grid_strideIlZZZN2at6native17linspace_cuda_outERKN3c106ScalarES6_lRNS1_6TensorEENKUlvE0_clEvENKUlvE0_clEvEUllE_EEvT_T0_PN15function_traitsISD_E11result_typeE.has_dyn_sized_stack, 0
	.set _ZN12_GLOBAL__N_141elementwise_kernel_with_index_grid_strideIlZZZN2at6native17linspace_cuda_outERKN3c106ScalarES6_lRNS1_6TensorEENKUlvE0_clEvENKUlvE0_clEvEUllE_EEvT_T0_PN15function_traitsISD_E11result_typeE.has_recursion, 0
	.set _ZN12_GLOBAL__N_141elementwise_kernel_with_index_grid_strideIlZZZN2at6native17linspace_cuda_outERKN3c106ScalarES6_lRNS1_6TensorEENKUlvE0_clEvENKUlvE0_clEvEUllE_EEvT_T0_PN15function_traitsISD_E11result_typeE.has_indirect_call, 0
	.section	.AMDGPU.csdata,"",@progbits
; Kernel info:
; codeLenInByte = 380
; TotalNumSgprs: 21
; NumVgprs: 11
; ScratchSize: 0
; MemoryBound: 0
; FloatMode: 240
; IeeeMode: 1
; LDSByteSize: 0 bytes/workgroup (compile time only)
; SGPRBlocks: 2
; VGPRBlocks: 2
; NumSGPRsForWavesPerEU: 21
; NumVGPRsForWavesPerEU: 11
; Occupancy: 10
; WaveLimiterHint : 0
; COMPUTE_PGM_RSRC2:SCRATCH_EN: 0
; COMPUTE_PGM_RSRC2:USER_SGPR: 6
; COMPUTE_PGM_RSRC2:TRAP_HANDLER: 0
; COMPUTE_PGM_RSRC2:TGID_X_EN: 1
; COMPUTE_PGM_RSRC2:TGID_Y_EN: 0
; COMPUTE_PGM_RSRC2:TGID_Z_EN: 0
; COMPUTE_PGM_RSRC2:TIDIG_COMP_CNT: 0
	.section	.text._ZN12_GLOBAL__N_141elementwise_kernel_with_index_grid_strideIiZZZN2at6native17linspace_cuda_outERKN3c106ScalarES6_lRNS1_6TensorEENKUlvE0_clEvENKUlvE1_clEvEUllE_EEvT_T0_PN15function_traitsISD_E11result_typeE,"axG",@progbits,_ZN12_GLOBAL__N_141elementwise_kernel_with_index_grid_strideIiZZZN2at6native17linspace_cuda_outERKN3c106ScalarES6_lRNS1_6TensorEENKUlvE0_clEvENKUlvE1_clEvEUllE_EEvT_T0_PN15function_traitsISD_E11result_typeE,comdat
	.globl	_ZN12_GLOBAL__N_141elementwise_kernel_with_index_grid_strideIiZZZN2at6native17linspace_cuda_outERKN3c106ScalarES6_lRNS1_6TensorEENKUlvE0_clEvENKUlvE1_clEvEUllE_EEvT_T0_PN15function_traitsISD_E11result_typeE ; -- Begin function _ZN12_GLOBAL__N_141elementwise_kernel_with_index_grid_strideIiZZZN2at6native17linspace_cuda_outERKN3c106ScalarES6_lRNS1_6TensorEENKUlvE0_clEvENKUlvE1_clEvEUllE_EEvT_T0_PN15function_traitsISD_E11result_typeE
	.p2align	8
	.type	_ZN12_GLOBAL__N_141elementwise_kernel_with_index_grid_strideIiZZZN2at6native17linspace_cuda_outERKN3c106ScalarES6_lRNS1_6TensorEENKUlvE0_clEvENKUlvE1_clEvEUllE_EEvT_T0_PN15function_traitsISD_E11result_typeE,@function
_ZN12_GLOBAL__N_141elementwise_kernel_with_index_grid_strideIiZZZN2at6native17linspace_cuda_outERKN3c106ScalarES6_lRNS1_6TensorEENKUlvE0_clEvENKUlvE1_clEvEUllE_EEvT_T0_PN15function_traitsISD_E11result_typeE: ; @_ZN12_GLOBAL__N_141elementwise_kernel_with_index_grid_strideIiZZZN2at6native17linspace_cuda_outERKN3c106ScalarES6_lRNS1_6TensorEENKUlvE0_clEvENKUlvE1_clEvEUllE_EEvT_T0_PN15function_traitsISD_E11result_typeE
; %bb.0:
	s_load_dword s0, s[4:5], 0x74
	s_load_dword s22, s[4:5], 0x0
	s_add_u32 s16, s4, 0x68
	s_addc_u32 s17, s5, 0
	s_waitcnt lgkmcnt(0)
	s_and_b32 s18, s0, 0xffff
	s_mul_i32 s6, s6, s18
	v_add_u32_e32 v4, s6, v0
	v_cmp_gt_i32_e32 vcc, s22, v4
	s_and_saveexec_b64 s[0:1], vcc
	s_cbranch_execz .LBB14_7
; %bb.1:
	s_load_dwordx8 s[8:15], s[4:5], 0x10
	s_load_dword s19, s[16:17], 0x0
	s_load_dwordx2 s[20:21], s[4:5], 0x30
	s_load_dwordx4 s[0:3], s[4:5], 0x40
	s_load_dwordx2 s[24:25], s[4:5], 0x60
	s_load_dwordx2 s[6:7], s[4:5], 0x50
	v_ashrrev_i32_e32 v5, 31, v4
	v_not_b32_e32 v1, v4
	v_not_b32_e32 v0, v5
	s_waitcnt lgkmcnt(0)
	v_mov_b32_e32 v2, s21
	v_add_co_u32_e32 v8, vcc, s20, v1
	v_addc_co_u32_e32 v9, vcc, v0, v2, vcc
	v_lshlrev_b64 v[0:1], 4, v[4:5]
	v_mov_b32_e32 v2, s25
	v_add_co_u32_e32 v0, vcc, s24, v0
	s_mul_i32 s4, s19, s18
	v_addc_co_u32_e32 v1, vcc, v2, v1, vcc
	s_ashr_i32 s5, s4, 31
	v_add_co_u32_e32 v6, vcc, 8, v0
	v_addc_co_u32_e32 v7, vcc, 0, v1, vcc
	s_lshl_b64 s[16:17], s[4:5], 4
	s_mov_b64 s[18:19], 0
	s_branch .LBB14_3
.LBB14_2:                               ;   in Loop: Header=BB14_3 Depth=1
	s_or_b64 exec, exec, s[20:21]
	global_store_dwordx4 v[6:7], v[0:3], off offset:-8
	v_add_co_u32_e32 v4, vcc, s4, v4
	v_mov_b32_e32 v0, s5
	v_addc_co_u32_e32 v5, vcc, v5, v0, vcc
	v_subrev_co_u32_e32 v8, vcc, s4, v8
	v_subb_co_u32_e32 v9, vcc, v9, v0, vcc
	v_cmp_le_i32_e32 vcc, s22, v4
	v_mov_b32_e32 v0, s17
	s_or_b64 s[18:19], vcc, s[18:19]
	v_add_co_u32_e32 v6, vcc, s16, v6
	v_addc_co_u32_e32 v7, vcc, v7, v0, vcc
	s_andn2_b64 exec, exec, s[18:19]
	s_cbranch_execz .LBB14_7
.LBB14_3:                               ; =>This Inner Loop Header: Depth=1
	v_cmp_le_i64_e32 vcc, s[6:7], v[4:5]
                                        ; implicit-def: $vgpr2_vgpr3
	s_and_saveexec_b64 s[20:21], vcc
	s_xor_b64 s[20:21], exec, s[20:21]
	s_cbranch_execz .LBB14_5
; %bb.4:                                ;   in Loop: Header=BB14_3 Depth=1
	v_cvt_f64_i32_e32 v[0:1], v9
	v_cvt_f64_u32_e32 v[2:3], v8
	v_mov_b32_e32 v10, s14
	v_mov_b32_e32 v11, s15
	v_ldexp_f64 v[0:1], v[0:1], 32
	v_add_f64 v[2:3], v[0:1], v[2:3]
	v_mov_b32_e32 v0, s12
	v_mov_b32_e32 v1, s13
	v_fma_f64 v[0:1], -s[0:1], v[2:3], v[0:1]
	v_fma_f64 v[2:3], -s[2:3], v[2:3], v[10:11]
.LBB14_5:                               ;   in Loop: Header=BB14_3 Depth=1
	s_andn2_saveexec_b64 s[20:21], s[20:21]
	s_cbranch_execz .LBB14_2
; %bb.6:                                ;   in Loop: Header=BB14_3 Depth=1
	v_cvt_f64_i32_e32 v[2:3], v4
	v_mov_b32_e32 v0, s8
	v_mov_b32_e32 v10, s10
	;; [unrolled: 1-line block ×4, first 2 shown]
	v_fma_f64 v[0:1], s[0:1], v[2:3], v[0:1]
	v_fma_f64 v[2:3], s[2:3], v[2:3], v[10:11]
	s_branch .LBB14_2
.LBB14_7:
	s_endpgm
	.section	.rodata,"a",@progbits
	.p2align	6, 0x0
	.amdhsa_kernel _ZN12_GLOBAL__N_141elementwise_kernel_with_index_grid_strideIiZZZN2at6native17linspace_cuda_outERKN3c106ScalarES6_lRNS1_6TensorEENKUlvE0_clEvENKUlvE1_clEvEUllE_EEvT_T0_PN15function_traitsISD_E11result_typeE
		.amdhsa_group_segment_fixed_size 0
		.amdhsa_private_segment_fixed_size 0
		.amdhsa_kernarg_size 360
		.amdhsa_user_sgpr_count 6
		.amdhsa_user_sgpr_private_segment_buffer 1
		.amdhsa_user_sgpr_dispatch_ptr 0
		.amdhsa_user_sgpr_queue_ptr 0
		.amdhsa_user_sgpr_kernarg_segment_ptr 1
		.amdhsa_user_sgpr_dispatch_id 0
		.amdhsa_user_sgpr_flat_scratch_init 0
		.amdhsa_user_sgpr_private_segment_size 0
		.amdhsa_uses_dynamic_stack 0
		.amdhsa_system_sgpr_private_segment_wavefront_offset 0
		.amdhsa_system_sgpr_workgroup_id_x 1
		.amdhsa_system_sgpr_workgroup_id_y 0
		.amdhsa_system_sgpr_workgroup_id_z 0
		.amdhsa_system_sgpr_workgroup_info 0
		.amdhsa_system_vgpr_workitem_id 0
		.amdhsa_next_free_vgpr 12
		.amdhsa_next_free_sgpr 26
		.amdhsa_reserve_vcc 1
		.amdhsa_reserve_flat_scratch 0
		.amdhsa_float_round_mode_32 0
		.amdhsa_float_round_mode_16_64 0
		.amdhsa_float_denorm_mode_32 3
		.amdhsa_float_denorm_mode_16_64 3
		.amdhsa_dx10_clamp 1
		.amdhsa_ieee_mode 1
		.amdhsa_fp16_overflow 0
		.amdhsa_exception_fp_ieee_invalid_op 0
		.amdhsa_exception_fp_denorm_src 0
		.amdhsa_exception_fp_ieee_div_zero 0
		.amdhsa_exception_fp_ieee_overflow 0
		.amdhsa_exception_fp_ieee_underflow 0
		.amdhsa_exception_fp_ieee_inexact 0
		.amdhsa_exception_int_div_zero 0
	.end_amdhsa_kernel
	.section	.text._ZN12_GLOBAL__N_141elementwise_kernel_with_index_grid_strideIiZZZN2at6native17linspace_cuda_outERKN3c106ScalarES6_lRNS1_6TensorEENKUlvE0_clEvENKUlvE1_clEvEUllE_EEvT_T0_PN15function_traitsISD_E11result_typeE,"axG",@progbits,_ZN12_GLOBAL__N_141elementwise_kernel_with_index_grid_strideIiZZZN2at6native17linspace_cuda_outERKN3c106ScalarES6_lRNS1_6TensorEENKUlvE0_clEvENKUlvE1_clEvEUllE_EEvT_T0_PN15function_traitsISD_E11result_typeE,comdat
.Lfunc_end14:
	.size	_ZN12_GLOBAL__N_141elementwise_kernel_with_index_grid_strideIiZZZN2at6native17linspace_cuda_outERKN3c106ScalarES6_lRNS1_6TensorEENKUlvE0_clEvENKUlvE1_clEvEUllE_EEvT_T0_PN15function_traitsISD_E11result_typeE, .Lfunc_end14-_ZN12_GLOBAL__N_141elementwise_kernel_with_index_grid_strideIiZZZN2at6native17linspace_cuda_outERKN3c106ScalarES6_lRNS1_6TensorEENKUlvE0_clEvENKUlvE1_clEvEUllE_EEvT_T0_PN15function_traitsISD_E11result_typeE
                                        ; -- End function
	.set _ZN12_GLOBAL__N_141elementwise_kernel_with_index_grid_strideIiZZZN2at6native17linspace_cuda_outERKN3c106ScalarES6_lRNS1_6TensorEENKUlvE0_clEvENKUlvE1_clEvEUllE_EEvT_T0_PN15function_traitsISD_E11result_typeE.num_vgpr, 12
	.set _ZN12_GLOBAL__N_141elementwise_kernel_with_index_grid_strideIiZZZN2at6native17linspace_cuda_outERKN3c106ScalarES6_lRNS1_6TensorEENKUlvE0_clEvENKUlvE1_clEvEUllE_EEvT_T0_PN15function_traitsISD_E11result_typeE.num_agpr, 0
	.set _ZN12_GLOBAL__N_141elementwise_kernel_with_index_grid_strideIiZZZN2at6native17linspace_cuda_outERKN3c106ScalarES6_lRNS1_6TensorEENKUlvE0_clEvENKUlvE1_clEvEUllE_EEvT_T0_PN15function_traitsISD_E11result_typeE.numbered_sgpr, 26
	.set _ZN12_GLOBAL__N_141elementwise_kernel_with_index_grid_strideIiZZZN2at6native17linspace_cuda_outERKN3c106ScalarES6_lRNS1_6TensorEENKUlvE0_clEvENKUlvE1_clEvEUllE_EEvT_T0_PN15function_traitsISD_E11result_typeE.num_named_barrier, 0
	.set _ZN12_GLOBAL__N_141elementwise_kernel_with_index_grid_strideIiZZZN2at6native17linspace_cuda_outERKN3c106ScalarES6_lRNS1_6TensorEENKUlvE0_clEvENKUlvE1_clEvEUllE_EEvT_T0_PN15function_traitsISD_E11result_typeE.private_seg_size, 0
	.set _ZN12_GLOBAL__N_141elementwise_kernel_with_index_grid_strideIiZZZN2at6native17linspace_cuda_outERKN3c106ScalarES6_lRNS1_6TensorEENKUlvE0_clEvENKUlvE1_clEvEUllE_EEvT_T0_PN15function_traitsISD_E11result_typeE.uses_vcc, 1
	.set _ZN12_GLOBAL__N_141elementwise_kernel_with_index_grid_strideIiZZZN2at6native17linspace_cuda_outERKN3c106ScalarES6_lRNS1_6TensorEENKUlvE0_clEvENKUlvE1_clEvEUllE_EEvT_T0_PN15function_traitsISD_E11result_typeE.uses_flat_scratch, 0
	.set _ZN12_GLOBAL__N_141elementwise_kernel_with_index_grid_strideIiZZZN2at6native17linspace_cuda_outERKN3c106ScalarES6_lRNS1_6TensorEENKUlvE0_clEvENKUlvE1_clEvEUllE_EEvT_T0_PN15function_traitsISD_E11result_typeE.has_dyn_sized_stack, 0
	.set _ZN12_GLOBAL__N_141elementwise_kernel_with_index_grid_strideIiZZZN2at6native17linspace_cuda_outERKN3c106ScalarES6_lRNS1_6TensorEENKUlvE0_clEvENKUlvE1_clEvEUllE_EEvT_T0_PN15function_traitsISD_E11result_typeE.has_recursion, 0
	.set _ZN12_GLOBAL__N_141elementwise_kernel_with_index_grid_strideIiZZZN2at6native17linspace_cuda_outERKN3c106ScalarES6_lRNS1_6TensorEENKUlvE0_clEvENKUlvE1_clEvEUllE_EEvT_T0_PN15function_traitsISD_E11result_typeE.has_indirect_call, 0
	.section	.AMDGPU.csdata,"",@progbits
; Kernel info:
; codeLenInByte = 368
; TotalNumSgprs: 30
; NumVgprs: 12
; ScratchSize: 0
; MemoryBound: 0
; FloatMode: 240
; IeeeMode: 1
; LDSByteSize: 0 bytes/workgroup (compile time only)
; SGPRBlocks: 3
; VGPRBlocks: 2
; NumSGPRsForWavesPerEU: 30
; NumVGPRsForWavesPerEU: 12
; Occupancy: 10
; WaveLimiterHint : 1
; COMPUTE_PGM_RSRC2:SCRATCH_EN: 0
; COMPUTE_PGM_RSRC2:USER_SGPR: 6
; COMPUTE_PGM_RSRC2:TRAP_HANDLER: 0
; COMPUTE_PGM_RSRC2:TGID_X_EN: 1
; COMPUTE_PGM_RSRC2:TGID_Y_EN: 0
; COMPUTE_PGM_RSRC2:TGID_Z_EN: 0
; COMPUTE_PGM_RSRC2:TIDIG_COMP_CNT: 0
	.section	.text._ZN12_GLOBAL__N_141elementwise_kernel_with_index_grid_strideIlZZZN2at6native17linspace_cuda_outERKN3c106ScalarES6_lRNS1_6TensorEENKUlvE0_clEvENKUlvE1_clEvEUllE_EEvT_T0_PN15function_traitsISD_E11result_typeE,"axG",@progbits,_ZN12_GLOBAL__N_141elementwise_kernel_with_index_grid_strideIlZZZN2at6native17linspace_cuda_outERKN3c106ScalarES6_lRNS1_6TensorEENKUlvE0_clEvENKUlvE1_clEvEUllE_EEvT_T0_PN15function_traitsISD_E11result_typeE,comdat
	.globl	_ZN12_GLOBAL__N_141elementwise_kernel_with_index_grid_strideIlZZZN2at6native17linspace_cuda_outERKN3c106ScalarES6_lRNS1_6TensorEENKUlvE0_clEvENKUlvE1_clEvEUllE_EEvT_T0_PN15function_traitsISD_E11result_typeE ; -- Begin function _ZN12_GLOBAL__N_141elementwise_kernel_with_index_grid_strideIlZZZN2at6native17linspace_cuda_outERKN3c106ScalarES6_lRNS1_6TensorEENKUlvE0_clEvENKUlvE1_clEvEUllE_EEvT_T0_PN15function_traitsISD_E11result_typeE
	.p2align	8
	.type	_ZN12_GLOBAL__N_141elementwise_kernel_with_index_grid_strideIlZZZN2at6native17linspace_cuda_outERKN3c106ScalarES6_lRNS1_6TensorEENKUlvE0_clEvENKUlvE1_clEvEUllE_EEvT_T0_PN15function_traitsISD_E11result_typeE,@function
_ZN12_GLOBAL__N_141elementwise_kernel_with_index_grid_strideIlZZZN2at6native17linspace_cuda_outERKN3c106ScalarES6_lRNS1_6TensorEENKUlvE0_clEvENKUlvE1_clEvEUllE_EEvT_T0_PN15function_traitsISD_E11result_typeE: ; @_ZN12_GLOBAL__N_141elementwise_kernel_with_index_grid_strideIlZZZN2at6native17linspace_cuda_outERKN3c106ScalarES6_lRNS1_6TensorEENKUlvE0_clEvENKUlvE1_clEvEUllE_EEvT_T0_PN15function_traitsISD_E11result_typeE
; %bb.0:
	s_load_dword s0, s[4:5], 0x74
	s_load_dwordx2 s[16:17], s[4:5], 0x0
	s_add_u32 s18, s4, 0x68
	s_addc_u32 s19, s5, 0
	v_mov_b32_e32 v1, 0
	s_waitcnt lgkmcnt(0)
	s_and_b32 s20, s0, 0xffff
	v_mov_b32_e32 v2, s6
	v_mad_u64_u32 v[4:5], s[0:1], s20, v2, v[0:1]
	v_cmp_gt_i64_e32 vcc, s[16:17], v[4:5]
	s_and_saveexec_b64 s[0:1], vcc
	s_cbranch_execz .LBB15_7
; %bb.1:
	s_load_dwordx8 s[8:15], s[4:5], 0x10
	s_load_dword s21, s[18:19], 0x0
	s_load_dwordx2 s[22:23], s[4:5], 0x30
	s_load_dwordx4 s[0:3], s[4:5], 0x40
	s_load_dwordx2 s[24:25], s[4:5], 0x60
	s_load_dwordx2 s[6:7], s[4:5], 0x50
	v_not_b32_e32 v1, v4
	v_not_b32_e32 v0, v5
	s_waitcnt lgkmcnt(0)
	v_mov_b32_e32 v2, s23
	v_add_co_u32_e32 v8, vcc, s22, v1
	v_addc_co_u32_e32 v9, vcc, v0, v2, vcc
	v_lshlrev_b64 v[0:1], 4, v[4:5]
	v_mov_b32_e32 v2, s25
	v_add_co_u32_e32 v0, vcc, s24, v0
	v_addc_co_u32_e32 v1, vcc, v2, v1, vcc
	s_mul_hi_u32 s5, s20, s21
	s_mul_i32 s4, s20, s21
	v_add_co_u32_e32 v6, vcc, 8, v0
	v_addc_co_u32_e32 v7, vcc, 0, v1, vcc
	s_lshl_b64 s[18:19], s[4:5], 4
	s_mov_b64 s[20:21], 0
	s_branch .LBB15_3
.LBB15_2:                               ;   in Loop: Header=BB15_3 Depth=1
	s_or_b64 exec, exec, s[22:23]
	global_store_dwordx4 v[6:7], v[0:3], off offset:-8
	v_add_co_u32_e32 v4, vcc, s4, v4
	v_mov_b32_e32 v0, s5
	v_addc_co_u32_e32 v5, vcc, v5, v0, vcc
	v_subrev_co_u32_e32 v8, vcc, s4, v8
	v_subb_co_u32_e32 v9, vcc, v9, v0, vcc
	v_cmp_le_i64_e32 vcc, s[16:17], v[4:5]
	v_mov_b32_e32 v0, s19
	s_or_b64 s[20:21], vcc, s[20:21]
	v_add_co_u32_e32 v6, vcc, s18, v6
	v_addc_co_u32_e32 v7, vcc, v7, v0, vcc
	s_andn2_b64 exec, exec, s[20:21]
	s_cbranch_execz .LBB15_7
.LBB15_3:                               ; =>This Inner Loop Header: Depth=1
	v_cmp_le_i64_e32 vcc, s[6:7], v[4:5]
                                        ; implicit-def: $vgpr2_vgpr3
	s_and_saveexec_b64 s[22:23], vcc
	s_xor_b64 s[22:23], exec, s[22:23]
	s_cbranch_execz .LBB15_5
; %bb.4:                                ;   in Loop: Header=BB15_3 Depth=1
	v_cvt_f64_i32_e32 v[0:1], v9
	v_cvt_f64_u32_e32 v[2:3], v8
	v_mov_b32_e32 v10, s14
	v_mov_b32_e32 v11, s15
	v_ldexp_f64 v[0:1], v[0:1], 32
	v_add_f64 v[2:3], v[0:1], v[2:3]
	v_mov_b32_e32 v0, s12
	v_mov_b32_e32 v1, s13
	v_fma_f64 v[0:1], -s[0:1], v[2:3], v[0:1]
	v_fma_f64 v[2:3], -s[2:3], v[2:3], v[10:11]
.LBB15_5:                               ;   in Loop: Header=BB15_3 Depth=1
	s_andn2_saveexec_b64 s[22:23], s[22:23]
	s_cbranch_execz .LBB15_2
; %bb.6:                                ;   in Loop: Header=BB15_3 Depth=1
	v_cvt_f64_u32_e32 v[0:1], v5
	v_cvt_f64_u32_e32 v[2:3], v4
	v_mov_b32_e32 v10, s10
	v_mov_b32_e32 v11, s11
	v_ldexp_f64 v[0:1], v[0:1], 32
	v_add_f64 v[2:3], v[0:1], v[2:3]
	v_mov_b32_e32 v0, s8
	v_mov_b32_e32 v1, s9
	v_fma_f64 v[0:1], s[0:1], v[2:3], v[0:1]
	v_fma_f64 v[2:3], s[2:3], v[2:3], v[10:11]
	s_branch .LBB15_2
.LBB15_7:
	s_endpgm
	.section	.rodata,"a",@progbits
	.p2align	6, 0x0
	.amdhsa_kernel _ZN12_GLOBAL__N_141elementwise_kernel_with_index_grid_strideIlZZZN2at6native17linspace_cuda_outERKN3c106ScalarES6_lRNS1_6TensorEENKUlvE0_clEvENKUlvE1_clEvEUllE_EEvT_T0_PN15function_traitsISD_E11result_typeE
		.amdhsa_group_segment_fixed_size 0
		.amdhsa_private_segment_fixed_size 0
		.amdhsa_kernarg_size 360
		.amdhsa_user_sgpr_count 6
		.amdhsa_user_sgpr_private_segment_buffer 1
		.amdhsa_user_sgpr_dispatch_ptr 0
		.amdhsa_user_sgpr_queue_ptr 0
		.amdhsa_user_sgpr_kernarg_segment_ptr 1
		.amdhsa_user_sgpr_dispatch_id 0
		.amdhsa_user_sgpr_flat_scratch_init 0
		.amdhsa_user_sgpr_private_segment_size 0
		.amdhsa_uses_dynamic_stack 0
		.amdhsa_system_sgpr_private_segment_wavefront_offset 0
		.amdhsa_system_sgpr_workgroup_id_x 1
		.amdhsa_system_sgpr_workgroup_id_y 0
		.amdhsa_system_sgpr_workgroup_id_z 0
		.amdhsa_system_sgpr_workgroup_info 0
		.amdhsa_system_vgpr_workitem_id 0
		.amdhsa_next_free_vgpr 12
		.amdhsa_next_free_sgpr 26
		.amdhsa_reserve_vcc 1
		.amdhsa_reserve_flat_scratch 0
		.amdhsa_float_round_mode_32 0
		.amdhsa_float_round_mode_16_64 0
		.amdhsa_float_denorm_mode_32 3
		.amdhsa_float_denorm_mode_16_64 3
		.amdhsa_dx10_clamp 1
		.amdhsa_ieee_mode 1
		.amdhsa_fp16_overflow 0
		.amdhsa_exception_fp_ieee_invalid_op 0
		.amdhsa_exception_fp_denorm_src 0
		.amdhsa_exception_fp_ieee_div_zero 0
		.amdhsa_exception_fp_ieee_overflow 0
		.amdhsa_exception_fp_ieee_underflow 0
		.amdhsa_exception_fp_ieee_inexact 0
		.amdhsa_exception_int_div_zero 0
	.end_amdhsa_kernel
	.section	.text._ZN12_GLOBAL__N_141elementwise_kernel_with_index_grid_strideIlZZZN2at6native17linspace_cuda_outERKN3c106ScalarES6_lRNS1_6TensorEENKUlvE0_clEvENKUlvE1_clEvEUllE_EEvT_T0_PN15function_traitsISD_E11result_typeE,"axG",@progbits,_ZN12_GLOBAL__N_141elementwise_kernel_with_index_grid_strideIlZZZN2at6native17linspace_cuda_outERKN3c106ScalarES6_lRNS1_6TensorEENKUlvE0_clEvENKUlvE1_clEvEUllE_EEvT_T0_PN15function_traitsISD_E11result_typeE,comdat
.Lfunc_end15:
	.size	_ZN12_GLOBAL__N_141elementwise_kernel_with_index_grid_strideIlZZZN2at6native17linspace_cuda_outERKN3c106ScalarES6_lRNS1_6TensorEENKUlvE0_clEvENKUlvE1_clEvEUllE_EEvT_T0_PN15function_traitsISD_E11result_typeE, .Lfunc_end15-_ZN12_GLOBAL__N_141elementwise_kernel_with_index_grid_strideIlZZZN2at6native17linspace_cuda_outERKN3c106ScalarES6_lRNS1_6TensorEENKUlvE0_clEvENKUlvE1_clEvEUllE_EEvT_T0_PN15function_traitsISD_E11result_typeE
                                        ; -- End function
	.set _ZN12_GLOBAL__N_141elementwise_kernel_with_index_grid_strideIlZZZN2at6native17linspace_cuda_outERKN3c106ScalarES6_lRNS1_6TensorEENKUlvE0_clEvENKUlvE1_clEvEUllE_EEvT_T0_PN15function_traitsISD_E11result_typeE.num_vgpr, 12
	.set _ZN12_GLOBAL__N_141elementwise_kernel_with_index_grid_strideIlZZZN2at6native17linspace_cuda_outERKN3c106ScalarES6_lRNS1_6TensorEENKUlvE0_clEvENKUlvE1_clEvEUllE_EEvT_T0_PN15function_traitsISD_E11result_typeE.num_agpr, 0
	.set _ZN12_GLOBAL__N_141elementwise_kernel_with_index_grid_strideIlZZZN2at6native17linspace_cuda_outERKN3c106ScalarES6_lRNS1_6TensorEENKUlvE0_clEvENKUlvE1_clEvEUllE_EEvT_T0_PN15function_traitsISD_E11result_typeE.numbered_sgpr, 26
	.set _ZN12_GLOBAL__N_141elementwise_kernel_with_index_grid_strideIlZZZN2at6native17linspace_cuda_outERKN3c106ScalarES6_lRNS1_6TensorEENKUlvE0_clEvENKUlvE1_clEvEUllE_EEvT_T0_PN15function_traitsISD_E11result_typeE.num_named_barrier, 0
	.set _ZN12_GLOBAL__N_141elementwise_kernel_with_index_grid_strideIlZZZN2at6native17linspace_cuda_outERKN3c106ScalarES6_lRNS1_6TensorEENKUlvE0_clEvENKUlvE1_clEvEUllE_EEvT_T0_PN15function_traitsISD_E11result_typeE.private_seg_size, 0
	.set _ZN12_GLOBAL__N_141elementwise_kernel_with_index_grid_strideIlZZZN2at6native17linspace_cuda_outERKN3c106ScalarES6_lRNS1_6TensorEENKUlvE0_clEvENKUlvE1_clEvEUllE_EEvT_T0_PN15function_traitsISD_E11result_typeE.uses_vcc, 1
	.set _ZN12_GLOBAL__N_141elementwise_kernel_with_index_grid_strideIlZZZN2at6native17linspace_cuda_outERKN3c106ScalarES6_lRNS1_6TensorEENKUlvE0_clEvENKUlvE1_clEvEUllE_EEvT_T0_PN15function_traitsISD_E11result_typeE.uses_flat_scratch, 0
	.set _ZN12_GLOBAL__N_141elementwise_kernel_with_index_grid_strideIlZZZN2at6native17linspace_cuda_outERKN3c106ScalarES6_lRNS1_6TensorEENKUlvE0_clEvENKUlvE1_clEvEUllE_EEvT_T0_PN15function_traitsISD_E11result_typeE.has_dyn_sized_stack, 0
	.set _ZN12_GLOBAL__N_141elementwise_kernel_with_index_grid_strideIlZZZN2at6native17linspace_cuda_outERKN3c106ScalarES6_lRNS1_6TensorEENKUlvE0_clEvENKUlvE1_clEvEUllE_EEvT_T0_PN15function_traitsISD_E11result_typeE.has_recursion, 0
	.set _ZN12_GLOBAL__N_141elementwise_kernel_with_index_grid_strideIlZZZN2at6native17linspace_cuda_outERKN3c106ScalarES6_lRNS1_6TensorEENKUlvE0_clEvENKUlvE1_clEvEUllE_EEvT_T0_PN15function_traitsISD_E11result_typeE.has_indirect_call, 0
	.section	.AMDGPU.csdata,"",@progbits
; Kernel info:
; codeLenInByte = 392
; TotalNumSgprs: 30
; NumVgprs: 12
; ScratchSize: 0
; MemoryBound: 0
; FloatMode: 240
; IeeeMode: 1
; LDSByteSize: 0 bytes/workgroup (compile time only)
; SGPRBlocks: 3
; VGPRBlocks: 2
; NumSGPRsForWavesPerEU: 30
; NumVGPRsForWavesPerEU: 12
; Occupancy: 10
; WaveLimiterHint : 1
; COMPUTE_PGM_RSRC2:SCRATCH_EN: 0
; COMPUTE_PGM_RSRC2:USER_SGPR: 6
; COMPUTE_PGM_RSRC2:TRAP_HANDLER: 0
; COMPUTE_PGM_RSRC2:TGID_X_EN: 1
; COMPUTE_PGM_RSRC2:TGID_Y_EN: 0
; COMPUTE_PGM_RSRC2:TGID_Z_EN: 0
; COMPUTE_PGM_RSRC2:TIDIG_COMP_CNT: 0
	.section	.text._ZN12_GLOBAL__N_141elementwise_kernel_with_index_grid_strideIiZZZN2at6native17linspace_cuda_outERKN3c106ScalarES6_lRNS1_6TensorEENKUlvE0_clEvENKUlvE2_clEvEUllE_EEvT_T0_PN15function_traitsISD_E11result_typeE,"axG",@progbits,_ZN12_GLOBAL__N_141elementwise_kernel_with_index_grid_strideIiZZZN2at6native17linspace_cuda_outERKN3c106ScalarES6_lRNS1_6TensorEENKUlvE0_clEvENKUlvE2_clEvEUllE_EEvT_T0_PN15function_traitsISD_E11result_typeE,comdat
	.globl	_ZN12_GLOBAL__N_141elementwise_kernel_with_index_grid_strideIiZZZN2at6native17linspace_cuda_outERKN3c106ScalarES6_lRNS1_6TensorEENKUlvE0_clEvENKUlvE2_clEvEUllE_EEvT_T0_PN15function_traitsISD_E11result_typeE ; -- Begin function _ZN12_GLOBAL__N_141elementwise_kernel_with_index_grid_strideIiZZZN2at6native17linspace_cuda_outERKN3c106ScalarES6_lRNS1_6TensorEENKUlvE0_clEvENKUlvE2_clEvEUllE_EEvT_T0_PN15function_traitsISD_E11result_typeE
	.p2align	8
	.type	_ZN12_GLOBAL__N_141elementwise_kernel_with_index_grid_strideIiZZZN2at6native17linspace_cuda_outERKN3c106ScalarES6_lRNS1_6TensorEENKUlvE0_clEvENKUlvE2_clEvEUllE_EEvT_T0_PN15function_traitsISD_E11result_typeE,@function
_ZN12_GLOBAL__N_141elementwise_kernel_with_index_grid_strideIiZZZN2at6native17linspace_cuda_outERKN3c106ScalarES6_lRNS1_6TensorEENKUlvE0_clEvENKUlvE2_clEvEUllE_EEvT_T0_PN15function_traitsISD_E11result_typeE: ; @_ZN12_GLOBAL__N_141elementwise_kernel_with_index_grid_strideIiZZZN2at6native17linspace_cuda_outERKN3c106ScalarES6_lRNS1_6TensorEENKUlvE0_clEvENKUlvE2_clEvEUllE_EEvT_T0_PN15function_traitsISD_E11result_typeE
; %bb.0:
	s_load_dword s0, s[4:5], 0x44
	s_load_dword s18, s[4:5], 0x0
	s_add_u32 s16, s4, 56
	s_addc_u32 s17, s5, 0
	s_waitcnt lgkmcnt(0)
	s_and_b32 s7, s0, 0xffff
	s_mul_i32 s6, s6, s7
	v_add_u32_e32 v0, s6, v0
	v_cmp_gt_i32_e32 vcc, s18, v0
	s_and_saveexec_b64 s[0:1], vcc
	s_cbranch_execz .LBB16_7
; %bb.1:
	s_load_dword s6, s[16:17], 0x0
	s_load_dwordx4 s[0:3], s[4:5], 0x8
	s_load_dwordx8 s[8:15], s[4:5], 0x18
	v_ashrrev_i32_e32 v1, 31, v0
	v_not_b32_e32 v2, v0
	v_not_b32_e32 v3, v1
	s_waitcnt lgkmcnt(0)
	s_mul_i32 s4, s6, s7
	v_mov_b32_e32 v4, s9
	v_add_co_u32_e32 v2, vcc, s8, v2
	v_addc_co_u32_e32 v3, vcc, v3, v4, vcc
	v_lshlrev_b64 v[4:5], 3, v[0:1]
	v_mov_b32_e32 v6, s15
	v_add_co_u32_e32 v4, vcc, s14, v4
	v_addc_co_u32_e32 v5, vcc, v6, v5, vcc
	s_ashr_i32 s5, s4, 31
	v_add_co_u32_e32 v4, vcc, 4, v4
	v_addc_co_u32_e32 v5, vcc, 0, v5, vcc
	s_lshl_b64 s[6:7], s[4:5], 3
	s_mov_b64 s[8:9], 0
	s_branch .LBB16_3
.LBB16_2:                               ;   in Loop: Header=BB16_3 Depth=1
	s_or_b64 exec, exec, s[14:15]
	global_store_dwordx2 v[4:5], v[6:7], off offset:-4
	v_mov_b32_e32 v6, s5
	v_add_co_u32_e32 v0, vcc, s4, v0
	v_addc_co_u32_e32 v1, vcc, v1, v6, vcc
	v_subrev_co_u32_e32 v2, vcc, s4, v2
	v_subb_co_u32_e32 v3, vcc, v3, v6, vcc
	v_cmp_le_i32_e32 vcc, s18, v0
	v_mov_b32_e32 v6, s7
	s_or_b64 s[8:9], vcc, s[8:9]
	v_add_co_u32_e32 v4, vcc, s6, v4
	v_addc_co_u32_e32 v5, vcc, v5, v6, vcc
	s_andn2_b64 exec, exec, s[8:9]
	s_cbranch_execz .LBB16_7
.LBB16_3:                               ; =>This Inner Loop Header: Depth=1
	v_cmp_le_i64_e32 vcc, s[12:13], v[0:1]
                                        ; implicit-def: $vgpr7
	s_and_saveexec_b64 s[14:15], vcc
	s_xor_b64 s[14:15], exec, s[14:15]
	s_cbranch_execz .LBB16_5
; %bb.4:                                ;   in Loop: Header=BB16_3 Depth=1
	v_xor_b32_e32 v7, v2, v3
	v_ffbh_i32_e32 v6, v3
	v_ashrrev_i32_e32 v7, 31, v7
	v_add_u32_e32 v6, -1, v6
	v_add_u32_e32 v7, 32, v7
	v_min_u32_e32 v8, v6, v7
	v_lshlrev_b64 v[6:7], v8, v[2:3]
	v_sub_u32_e32 v8, 32, v8
	v_min_u32_e32 v6, 1, v6
	v_or_b32_e32 v6, v7, v6
	v_cvt_f32_i32_e32 v6, v6
	v_mov_b32_e32 v7, s2
	v_ldexp_f32 v8, v6, v8
	v_fma_f32 v6, -s10, v8, v7
	v_mov_b32_e32 v7, s3
	v_fma_f32 v7, -s11, v8, v7
.LBB16_5:                               ;   in Loop: Header=BB16_3 Depth=1
	s_andn2_saveexec_b64 s[14:15], s[14:15]
	s_cbranch_execz .LBB16_2
; %bb.6:                                ;   in Loop: Header=BB16_3 Depth=1
	v_cvt_f32_i32_e32 v7, v0
	v_mov_b32_e32 v6, s0
	v_mov_b32_e32 v8, s1
	v_fma_f32 v6, s10, v7, v6
	v_fma_f32 v7, s11, v7, v8
	s_branch .LBB16_2
.LBB16_7:
	s_endpgm
	.section	.rodata,"a",@progbits
	.p2align	6, 0x0
	.amdhsa_kernel _ZN12_GLOBAL__N_141elementwise_kernel_with_index_grid_strideIiZZZN2at6native17linspace_cuda_outERKN3c106ScalarES6_lRNS1_6TensorEENKUlvE0_clEvENKUlvE2_clEvEUllE_EEvT_T0_PN15function_traitsISD_E11result_typeE
		.amdhsa_group_segment_fixed_size 0
		.amdhsa_private_segment_fixed_size 0
		.amdhsa_kernarg_size 312
		.amdhsa_user_sgpr_count 6
		.amdhsa_user_sgpr_private_segment_buffer 1
		.amdhsa_user_sgpr_dispatch_ptr 0
		.amdhsa_user_sgpr_queue_ptr 0
		.amdhsa_user_sgpr_kernarg_segment_ptr 1
		.amdhsa_user_sgpr_dispatch_id 0
		.amdhsa_user_sgpr_flat_scratch_init 0
		.amdhsa_user_sgpr_private_segment_size 0
		.amdhsa_uses_dynamic_stack 0
		.amdhsa_system_sgpr_private_segment_wavefront_offset 0
		.amdhsa_system_sgpr_workgroup_id_x 1
		.amdhsa_system_sgpr_workgroup_id_y 0
		.amdhsa_system_sgpr_workgroup_id_z 0
		.amdhsa_system_sgpr_workgroup_info 0
		.amdhsa_system_vgpr_workitem_id 0
		.amdhsa_next_free_vgpr 9
		.amdhsa_next_free_sgpr 19
		.amdhsa_reserve_vcc 1
		.amdhsa_reserve_flat_scratch 0
		.amdhsa_float_round_mode_32 0
		.amdhsa_float_round_mode_16_64 0
		.amdhsa_float_denorm_mode_32 3
		.amdhsa_float_denorm_mode_16_64 3
		.amdhsa_dx10_clamp 1
		.amdhsa_ieee_mode 1
		.amdhsa_fp16_overflow 0
		.amdhsa_exception_fp_ieee_invalid_op 0
		.amdhsa_exception_fp_denorm_src 0
		.amdhsa_exception_fp_ieee_div_zero 0
		.amdhsa_exception_fp_ieee_overflow 0
		.amdhsa_exception_fp_ieee_underflow 0
		.amdhsa_exception_fp_ieee_inexact 0
		.amdhsa_exception_int_div_zero 0
	.end_amdhsa_kernel
	.section	.text._ZN12_GLOBAL__N_141elementwise_kernel_with_index_grid_strideIiZZZN2at6native17linspace_cuda_outERKN3c106ScalarES6_lRNS1_6TensorEENKUlvE0_clEvENKUlvE2_clEvEUllE_EEvT_T0_PN15function_traitsISD_E11result_typeE,"axG",@progbits,_ZN12_GLOBAL__N_141elementwise_kernel_with_index_grid_strideIiZZZN2at6native17linspace_cuda_outERKN3c106ScalarES6_lRNS1_6TensorEENKUlvE0_clEvENKUlvE2_clEvEUllE_EEvT_T0_PN15function_traitsISD_E11result_typeE,comdat
.Lfunc_end16:
	.size	_ZN12_GLOBAL__N_141elementwise_kernel_with_index_grid_strideIiZZZN2at6native17linspace_cuda_outERKN3c106ScalarES6_lRNS1_6TensorEENKUlvE0_clEvENKUlvE2_clEvEUllE_EEvT_T0_PN15function_traitsISD_E11result_typeE, .Lfunc_end16-_ZN12_GLOBAL__N_141elementwise_kernel_with_index_grid_strideIiZZZN2at6native17linspace_cuda_outERKN3c106ScalarES6_lRNS1_6TensorEENKUlvE0_clEvENKUlvE2_clEvEUllE_EEvT_T0_PN15function_traitsISD_E11result_typeE
                                        ; -- End function
	.set _ZN12_GLOBAL__N_141elementwise_kernel_with_index_grid_strideIiZZZN2at6native17linspace_cuda_outERKN3c106ScalarES6_lRNS1_6TensorEENKUlvE0_clEvENKUlvE2_clEvEUllE_EEvT_T0_PN15function_traitsISD_E11result_typeE.num_vgpr, 9
	.set _ZN12_GLOBAL__N_141elementwise_kernel_with_index_grid_strideIiZZZN2at6native17linspace_cuda_outERKN3c106ScalarES6_lRNS1_6TensorEENKUlvE0_clEvENKUlvE2_clEvEUllE_EEvT_T0_PN15function_traitsISD_E11result_typeE.num_agpr, 0
	.set _ZN12_GLOBAL__N_141elementwise_kernel_with_index_grid_strideIiZZZN2at6native17linspace_cuda_outERKN3c106ScalarES6_lRNS1_6TensorEENKUlvE0_clEvENKUlvE2_clEvEUllE_EEvT_T0_PN15function_traitsISD_E11result_typeE.numbered_sgpr, 19
	.set _ZN12_GLOBAL__N_141elementwise_kernel_with_index_grid_strideIiZZZN2at6native17linspace_cuda_outERKN3c106ScalarES6_lRNS1_6TensorEENKUlvE0_clEvENKUlvE2_clEvEUllE_EEvT_T0_PN15function_traitsISD_E11result_typeE.num_named_barrier, 0
	.set _ZN12_GLOBAL__N_141elementwise_kernel_with_index_grid_strideIiZZZN2at6native17linspace_cuda_outERKN3c106ScalarES6_lRNS1_6TensorEENKUlvE0_clEvENKUlvE2_clEvEUllE_EEvT_T0_PN15function_traitsISD_E11result_typeE.private_seg_size, 0
	.set _ZN12_GLOBAL__N_141elementwise_kernel_with_index_grid_strideIiZZZN2at6native17linspace_cuda_outERKN3c106ScalarES6_lRNS1_6TensorEENKUlvE0_clEvENKUlvE2_clEvEUllE_EEvT_T0_PN15function_traitsISD_E11result_typeE.uses_vcc, 1
	.set _ZN12_GLOBAL__N_141elementwise_kernel_with_index_grid_strideIiZZZN2at6native17linspace_cuda_outERKN3c106ScalarES6_lRNS1_6TensorEENKUlvE0_clEvENKUlvE2_clEvEUllE_EEvT_T0_PN15function_traitsISD_E11result_typeE.uses_flat_scratch, 0
	.set _ZN12_GLOBAL__N_141elementwise_kernel_with_index_grid_strideIiZZZN2at6native17linspace_cuda_outERKN3c106ScalarES6_lRNS1_6TensorEENKUlvE0_clEvENKUlvE2_clEvEUllE_EEvT_T0_PN15function_traitsISD_E11result_typeE.has_dyn_sized_stack, 0
	.set _ZN12_GLOBAL__N_141elementwise_kernel_with_index_grid_strideIiZZZN2at6native17linspace_cuda_outERKN3c106ScalarES6_lRNS1_6TensorEENKUlvE0_clEvENKUlvE2_clEvEUllE_EEvT_T0_PN15function_traitsISD_E11result_typeE.has_recursion, 0
	.set _ZN12_GLOBAL__N_141elementwise_kernel_with_index_grid_strideIiZZZN2at6native17linspace_cuda_outERKN3c106ScalarES6_lRNS1_6TensorEENKUlvE0_clEvENKUlvE2_clEvEUllE_EEvT_T0_PN15function_traitsISD_E11result_typeE.has_indirect_call, 0
	.section	.AMDGPU.csdata,"",@progbits
; Kernel info:
; codeLenInByte = 356
; TotalNumSgprs: 23
; NumVgprs: 9
; ScratchSize: 0
; MemoryBound: 0
; FloatMode: 240
; IeeeMode: 1
; LDSByteSize: 0 bytes/workgroup (compile time only)
; SGPRBlocks: 2
; VGPRBlocks: 2
; NumSGPRsForWavesPerEU: 23
; NumVGPRsForWavesPerEU: 9
; Occupancy: 10
; WaveLimiterHint : 0
; COMPUTE_PGM_RSRC2:SCRATCH_EN: 0
; COMPUTE_PGM_RSRC2:USER_SGPR: 6
; COMPUTE_PGM_RSRC2:TRAP_HANDLER: 0
; COMPUTE_PGM_RSRC2:TGID_X_EN: 1
; COMPUTE_PGM_RSRC2:TGID_Y_EN: 0
; COMPUTE_PGM_RSRC2:TGID_Z_EN: 0
; COMPUTE_PGM_RSRC2:TIDIG_COMP_CNT: 0
	.section	.text._ZN12_GLOBAL__N_141elementwise_kernel_with_index_grid_strideIlZZZN2at6native17linspace_cuda_outERKN3c106ScalarES6_lRNS1_6TensorEENKUlvE0_clEvENKUlvE2_clEvEUllE_EEvT_T0_PN15function_traitsISD_E11result_typeE,"axG",@progbits,_ZN12_GLOBAL__N_141elementwise_kernel_with_index_grid_strideIlZZZN2at6native17linspace_cuda_outERKN3c106ScalarES6_lRNS1_6TensorEENKUlvE0_clEvENKUlvE2_clEvEUllE_EEvT_T0_PN15function_traitsISD_E11result_typeE,comdat
	.globl	_ZN12_GLOBAL__N_141elementwise_kernel_with_index_grid_strideIlZZZN2at6native17linspace_cuda_outERKN3c106ScalarES6_lRNS1_6TensorEENKUlvE0_clEvENKUlvE2_clEvEUllE_EEvT_T0_PN15function_traitsISD_E11result_typeE ; -- Begin function _ZN12_GLOBAL__N_141elementwise_kernel_with_index_grid_strideIlZZZN2at6native17linspace_cuda_outERKN3c106ScalarES6_lRNS1_6TensorEENKUlvE0_clEvENKUlvE2_clEvEUllE_EEvT_T0_PN15function_traitsISD_E11result_typeE
	.p2align	8
	.type	_ZN12_GLOBAL__N_141elementwise_kernel_with_index_grid_strideIlZZZN2at6native17linspace_cuda_outERKN3c106ScalarES6_lRNS1_6TensorEENKUlvE0_clEvENKUlvE2_clEvEUllE_EEvT_T0_PN15function_traitsISD_E11result_typeE,@function
_ZN12_GLOBAL__N_141elementwise_kernel_with_index_grid_strideIlZZZN2at6native17linspace_cuda_outERKN3c106ScalarES6_lRNS1_6TensorEENKUlvE0_clEvENKUlvE2_clEvEUllE_EEvT_T0_PN15function_traitsISD_E11result_typeE: ; @_ZN12_GLOBAL__N_141elementwise_kernel_with_index_grid_strideIlZZZN2at6native17linspace_cuda_outERKN3c106ScalarES6_lRNS1_6TensorEENKUlvE0_clEvENKUlvE2_clEvEUllE_EEvT_T0_PN15function_traitsISD_E11result_typeE
; %bb.0:
	s_load_dword s0, s[4:5], 0x44
	s_load_dwordx2 s[16:17], s[4:5], 0x0
	s_add_u32 s18, s4, 56
	s_addc_u32 s19, s5, 0
	v_mov_b32_e32 v1, 0
	s_waitcnt lgkmcnt(0)
	s_and_b32 s7, s0, 0xffff
	v_mov_b32_e32 v2, s6
	v_mad_u64_u32 v[0:1], s[0:1], s7, v2, v[0:1]
	v_cmp_gt_i64_e32 vcc, s[16:17], v[0:1]
	s_and_saveexec_b64 s[0:1], vcc
	s_cbranch_execz .LBB17_7
; %bb.1:
	s_load_dword s6, s[18:19], 0x0
	s_load_dwordx4 s[0:3], s[4:5], 0x8
	s_load_dwordx8 s[8:15], s[4:5], 0x18
	v_not_b32_e32 v2, v0
	v_not_b32_e32 v3, v1
	s_waitcnt lgkmcnt(0)
	s_mul_hi_u32 s5, s7, s6
	s_mul_i32 s4, s7, s6
	v_mov_b32_e32 v4, s9
	v_add_co_u32_e32 v2, vcc, s8, v2
	v_addc_co_u32_e32 v3, vcc, v3, v4, vcc
	v_lshlrev_b64 v[4:5], 3, v[0:1]
	v_mov_b32_e32 v6, s15
	v_add_co_u32_e32 v4, vcc, s14, v4
	v_addc_co_u32_e32 v5, vcc, v6, v5, vcc
	v_add_co_u32_e32 v4, vcc, 4, v4
	v_addc_co_u32_e32 v5, vcc, 0, v5, vcc
	s_lshl_b64 s[6:7], s[4:5], 3
	s_mov_b64 s[8:9], 0
	s_branch .LBB17_3
.LBB17_2:                               ;   in Loop: Header=BB17_3 Depth=1
	s_or_b64 exec, exec, s[14:15]
	global_store_dwordx2 v[4:5], v[6:7], off offset:-4
	v_mov_b32_e32 v6, s5
	v_add_co_u32_e32 v0, vcc, s4, v0
	v_addc_co_u32_e32 v1, vcc, v1, v6, vcc
	v_subrev_co_u32_e32 v2, vcc, s4, v2
	v_subb_co_u32_e32 v3, vcc, v3, v6, vcc
	v_cmp_le_i64_e32 vcc, s[16:17], v[0:1]
	v_mov_b32_e32 v6, s7
	s_or_b64 s[8:9], vcc, s[8:9]
	v_add_co_u32_e32 v4, vcc, s6, v4
	v_addc_co_u32_e32 v5, vcc, v5, v6, vcc
	s_andn2_b64 exec, exec, s[8:9]
	s_cbranch_execz .LBB17_7
.LBB17_3:                               ; =>This Inner Loop Header: Depth=1
	v_cmp_le_i64_e32 vcc, s[12:13], v[0:1]
                                        ; implicit-def: $vgpr7
	s_and_saveexec_b64 s[14:15], vcc
	s_xor_b64 s[14:15], exec, s[14:15]
	s_cbranch_execz .LBB17_5
; %bb.4:                                ;   in Loop: Header=BB17_3 Depth=1
	v_xor_b32_e32 v7, v2, v3
	v_ffbh_i32_e32 v6, v3
	v_ashrrev_i32_e32 v7, 31, v7
	v_add_u32_e32 v6, -1, v6
	v_add_u32_e32 v7, 32, v7
	v_min_u32_e32 v8, v6, v7
	v_lshlrev_b64 v[6:7], v8, v[2:3]
	v_sub_u32_e32 v8, 32, v8
	v_min_u32_e32 v6, 1, v6
	v_or_b32_e32 v6, v7, v6
	v_cvt_f32_i32_e32 v6, v6
	v_mov_b32_e32 v7, s2
	v_ldexp_f32 v8, v6, v8
	v_fma_f32 v6, -s10, v8, v7
	v_mov_b32_e32 v7, s3
	v_fma_f32 v7, -s11, v8, v7
.LBB17_5:                               ;   in Loop: Header=BB17_3 Depth=1
	s_andn2_saveexec_b64 s[14:15], s[14:15]
	s_cbranch_execz .LBB17_2
; %bb.6:                                ;   in Loop: Header=BB17_3 Depth=1
	v_ffbh_u32_e32 v6, v1
	v_min_u32_e32 v8, 32, v6
	v_lshlrev_b64 v[6:7], v8, v[0:1]
	v_sub_u32_e32 v8, 32, v8
	v_min_u32_e32 v6, 1, v6
	v_or_b32_e32 v6, v7, v6
	v_cvt_f32_u32_e32 v6, v6
	v_mov_b32_e32 v7, s0
	v_mov_b32_e32 v9, s1
	v_ldexp_f32 v8, v6, v8
	v_fma_f32 v6, s10, v8, v7
	v_fma_f32 v7, s11, v8, v9
	s_branch .LBB17_2
.LBB17_7:
	s_endpgm
	.section	.rodata,"a",@progbits
	.p2align	6, 0x0
	.amdhsa_kernel _ZN12_GLOBAL__N_141elementwise_kernel_with_index_grid_strideIlZZZN2at6native17linspace_cuda_outERKN3c106ScalarES6_lRNS1_6TensorEENKUlvE0_clEvENKUlvE2_clEvEUllE_EEvT_T0_PN15function_traitsISD_E11result_typeE
		.amdhsa_group_segment_fixed_size 0
		.amdhsa_private_segment_fixed_size 0
		.amdhsa_kernarg_size 312
		.amdhsa_user_sgpr_count 6
		.amdhsa_user_sgpr_private_segment_buffer 1
		.amdhsa_user_sgpr_dispatch_ptr 0
		.amdhsa_user_sgpr_queue_ptr 0
		.amdhsa_user_sgpr_kernarg_segment_ptr 1
		.amdhsa_user_sgpr_dispatch_id 0
		.amdhsa_user_sgpr_flat_scratch_init 0
		.amdhsa_user_sgpr_private_segment_size 0
		.amdhsa_uses_dynamic_stack 0
		.amdhsa_system_sgpr_private_segment_wavefront_offset 0
		.amdhsa_system_sgpr_workgroup_id_x 1
		.amdhsa_system_sgpr_workgroup_id_y 0
		.amdhsa_system_sgpr_workgroup_id_z 0
		.amdhsa_system_sgpr_workgroup_info 0
		.amdhsa_system_vgpr_workitem_id 0
		.amdhsa_next_free_vgpr 10
		.amdhsa_next_free_sgpr 20
		.amdhsa_reserve_vcc 1
		.amdhsa_reserve_flat_scratch 0
		.amdhsa_float_round_mode_32 0
		.amdhsa_float_round_mode_16_64 0
		.amdhsa_float_denorm_mode_32 3
		.amdhsa_float_denorm_mode_16_64 3
		.amdhsa_dx10_clamp 1
		.amdhsa_ieee_mode 1
		.amdhsa_fp16_overflow 0
		.amdhsa_exception_fp_ieee_invalid_op 0
		.amdhsa_exception_fp_denorm_src 0
		.amdhsa_exception_fp_ieee_div_zero 0
		.amdhsa_exception_fp_ieee_overflow 0
		.amdhsa_exception_fp_ieee_underflow 0
		.amdhsa_exception_fp_ieee_inexact 0
		.amdhsa_exception_int_div_zero 0
	.end_amdhsa_kernel
	.section	.text._ZN12_GLOBAL__N_141elementwise_kernel_with_index_grid_strideIlZZZN2at6native17linspace_cuda_outERKN3c106ScalarES6_lRNS1_6TensorEENKUlvE0_clEvENKUlvE2_clEvEUllE_EEvT_T0_PN15function_traitsISD_E11result_typeE,"axG",@progbits,_ZN12_GLOBAL__N_141elementwise_kernel_with_index_grid_strideIlZZZN2at6native17linspace_cuda_outERKN3c106ScalarES6_lRNS1_6TensorEENKUlvE0_clEvENKUlvE2_clEvEUllE_EEvT_T0_PN15function_traitsISD_E11result_typeE,comdat
.Lfunc_end17:
	.size	_ZN12_GLOBAL__N_141elementwise_kernel_with_index_grid_strideIlZZZN2at6native17linspace_cuda_outERKN3c106ScalarES6_lRNS1_6TensorEENKUlvE0_clEvENKUlvE2_clEvEUllE_EEvT_T0_PN15function_traitsISD_E11result_typeE, .Lfunc_end17-_ZN12_GLOBAL__N_141elementwise_kernel_with_index_grid_strideIlZZZN2at6native17linspace_cuda_outERKN3c106ScalarES6_lRNS1_6TensorEENKUlvE0_clEvENKUlvE2_clEvEUllE_EEvT_T0_PN15function_traitsISD_E11result_typeE
                                        ; -- End function
	.set _ZN12_GLOBAL__N_141elementwise_kernel_with_index_grid_strideIlZZZN2at6native17linspace_cuda_outERKN3c106ScalarES6_lRNS1_6TensorEENKUlvE0_clEvENKUlvE2_clEvEUllE_EEvT_T0_PN15function_traitsISD_E11result_typeE.num_vgpr, 10
	.set _ZN12_GLOBAL__N_141elementwise_kernel_with_index_grid_strideIlZZZN2at6native17linspace_cuda_outERKN3c106ScalarES6_lRNS1_6TensorEENKUlvE0_clEvENKUlvE2_clEvEUllE_EEvT_T0_PN15function_traitsISD_E11result_typeE.num_agpr, 0
	.set _ZN12_GLOBAL__N_141elementwise_kernel_with_index_grid_strideIlZZZN2at6native17linspace_cuda_outERKN3c106ScalarES6_lRNS1_6TensorEENKUlvE0_clEvENKUlvE2_clEvEUllE_EEvT_T0_PN15function_traitsISD_E11result_typeE.numbered_sgpr, 20
	.set _ZN12_GLOBAL__N_141elementwise_kernel_with_index_grid_strideIlZZZN2at6native17linspace_cuda_outERKN3c106ScalarES6_lRNS1_6TensorEENKUlvE0_clEvENKUlvE2_clEvEUllE_EEvT_T0_PN15function_traitsISD_E11result_typeE.num_named_barrier, 0
	.set _ZN12_GLOBAL__N_141elementwise_kernel_with_index_grid_strideIlZZZN2at6native17linspace_cuda_outERKN3c106ScalarES6_lRNS1_6TensorEENKUlvE0_clEvENKUlvE2_clEvEUllE_EEvT_T0_PN15function_traitsISD_E11result_typeE.private_seg_size, 0
	.set _ZN12_GLOBAL__N_141elementwise_kernel_with_index_grid_strideIlZZZN2at6native17linspace_cuda_outERKN3c106ScalarES6_lRNS1_6TensorEENKUlvE0_clEvENKUlvE2_clEvEUllE_EEvT_T0_PN15function_traitsISD_E11result_typeE.uses_vcc, 1
	.set _ZN12_GLOBAL__N_141elementwise_kernel_with_index_grid_strideIlZZZN2at6native17linspace_cuda_outERKN3c106ScalarES6_lRNS1_6TensorEENKUlvE0_clEvENKUlvE2_clEvEUllE_EEvT_T0_PN15function_traitsISD_E11result_typeE.uses_flat_scratch, 0
	.set _ZN12_GLOBAL__N_141elementwise_kernel_with_index_grid_strideIlZZZN2at6native17linspace_cuda_outERKN3c106ScalarES6_lRNS1_6TensorEENKUlvE0_clEvENKUlvE2_clEvEUllE_EEvT_T0_PN15function_traitsISD_E11result_typeE.has_dyn_sized_stack, 0
	.set _ZN12_GLOBAL__N_141elementwise_kernel_with_index_grid_strideIlZZZN2at6native17linspace_cuda_outERKN3c106ScalarES6_lRNS1_6TensorEENKUlvE0_clEvENKUlvE2_clEvEUllE_EEvT_T0_PN15function_traitsISD_E11result_typeE.has_recursion, 0
	.set _ZN12_GLOBAL__N_141elementwise_kernel_with_index_grid_strideIlZZZN2at6native17linspace_cuda_outERKN3c106ScalarES6_lRNS1_6TensorEENKUlvE0_clEvENKUlvE2_clEvEUllE_EEvT_T0_PN15function_traitsISD_E11result_typeE.has_indirect_call, 0
	.section	.AMDGPU.csdata,"",@progbits
; Kernel info:
; codeLenInByte = 396
; TotalNumSgprs: 24
; NumVgprs: 10
; ScratchSize: 0
; MemoryBound: 0
; FloatMode: 240
; IeeeMode: 1
; LDSByteSize: 0 bytes/workgroup (compile time only)
; SGPRBlocks: 2
; VGPRBlocks: 2
; NumSGPRsForWavesPerEU: 24
; NumVGPRsForWavesPerEU: 10
; Occupancy: 10
; WaveLimiterHint : 0
; COMPUTE_PGM_RSRC2:SCRATCH_EN: 0
; COMPUTE_PGM_RSRC2:USER_SGPR: 6
; COMPUTE_PGM_RSRC2:TRAP_HANDLER: 0
; COMPUTE_PGM_RSRC2:TGID_X_EN: 1
; COMPUTE_PGM_RSRC2:TGID_Y_EN: 0
; COMPUTE_PGM_RSRC2:TGID_Z_EN: 0
; COMPUTE_PGM_RSRC2:TIDIG_COMP_CNT: 0
	.section	.text._ZN12_GLOBAL__N_141elementwise_kernel_with_index_grid_strideIiZZZN2at6native17linspace_cuda_outERKN3c106ScalarES6_lRNS1_6TensorEENKUlvE0_clEvENKUlvE3_clEvEUllE_EEvT_T0_PN15function_traitsISD_E11result_typeE,"axG",@progbits,_ZN12_GLOBAL__N_141elementwise_kernel_with_index_grid_strideIiZZZN2at6native17linspace_cuda_outERKN3c106ScalarES6_lRNS1_6TensorEENKUlvE0_clEvENKUlvE3_clEvEUllE_EEvT_T0_PN15function_traitsISD_E11result_typeE,comdat
	.globl	_ZN12_GLOBAL__N_141elementwise_kernel_with_index_grid_strideIiZZZN2at6native17linspace_cuda_outERKN3c106ScalarES6_lRNS1_6TensorEENKUlvE0_clEvENKUlvE3_clEvEUllE_EEvT_T0_PN15function_traitsISD_E11result_typeE ; -- Begin function _ZN12_GLOBAL__N_141elementwise_kernel_with_index_grid_strideIiZZZN2at6native17linspace_cuda_outERKN3c106ScalarES6_lRNS1_6TensorEENKUlvE0_clEvENKUlvE3_clEvEUllE_EEvT_T0_PN15function_traitsISD_E11result_typeE
	.p2align	8
	.type	_ZN12_GLOBAL__N_141elementwise_kernel_with_index_grid_strideIiZZZN2at6native17linspace_cuda_outERKN3c106ScalarES6_lRNS1_6TensorEENKUlvE0_clEvENKUlvE3_clEvEUllE_EEvT_T0_PN15function_traitsISD_E11result_typeE,@function
_ZN12_GLOBAL__N_141elementwise_kernel_with_index_grid_strideIiZZZN2at6native17linspace_cuda_outERKN3c106ScalarES6_lRNS1_6TensorEENKUlvE0_clEvENKUlvE3_clEvEUllE_EEvT_T0_PN15function_traitsISD_E11result_typeE: ; @_ZN12_GLOBAL__N_141elementwise_kernel_with_index_grid_strideIiZZZN2at6native17linspace_cuda_outERKN3c106ScalarES6_lRNS1_6TensorEENKUlvE0_clEvENKUlvE3_clEvEUllE_EEvT_T0_PN15function_traitsISD_E11result_typeE
; %bb.0:
	s_load_dword s2, s[4:5], 0x3c
	s_load_dword s20, s[4:5], 0x0
	s_add_u32 s0, s4, 48
	s_addc_u32 s1, s5, 0
	s_waitcnt lgkmcnt(0)
	s_and_b32 s2, s2, 0xffff
	s_mul_i32 s3, s6, s2
	v_add_u32_e32 v1, s3, v0
	v_cmp_gt_i32_e32 vcc, s20, v1
	s_and_saveexec_b64 s[8:9], vcc
	s_cbranch_execz .LBB18_12
; %bb.1:
	s_load_dword s0, s[0:1], 0x0
	s_waitcnt lgkmcnt(0)
	s_mul_i32 s12, s0, s2
	v_cvt_f32_u32_e32 v2, s12
	s_sub_i32 s1, 0, s12
	s_add_i32 s0, s6, s0
	s_mul_i32 s0, s0, s2
	v_rcp_iflag_f32_e32 v2, v2
	v_add_u32_e32 v4, s0, v0
	v_mov_b32_e32 v5, s0
	v_cmp_gt_i32_e32 vcc, s20, v4
	v_mul_f32_e32 v2, 0x4f7ffffe, v2
	v_cvt_u32_f32_e32 v2, v2
	v_max_i32_e32 v6, s20, v4
	s_load_dword s21, s[4:5], 0x8
	s_load_dwordx2 s[6:7], s[4:5], 0x10
	s_load_dword s22, s[4:5], 0x18
	s_load_dwordx4 s[8:11], s[4:5], 0x20
	v_mul_lo_u32 v3, s1, v2
	v_addc_co_u32_e64 v0, s[0:1], v0, v5, vcc
	v_sub_u32_e32 v0, v6, v0
	v_mul_hi_u32 v3, v2, v3
	s_waitcnt lgkmcnt(0)
	s_lshr_b32 s23, s21, 16
	v_add_u32_e32 v2, v2, v3
	v_mul_hi_u32 v2, v0, v2
	v_mul_lo_u32 v3, v2, s12
	v_add_u32_e32 v4, 1, v2
	v_sub_u32_e32 v0, v0, v3
	v_cmp_le_u32_e64 s[0:1], s12, v0
	v_subrev_u32_e32 v3, s12, v0
	v_cndmask_b32_e64 v2, v2, v4, s[0:1]
	v_cndmask_b32_e64 v0, v0, v3, s[0:1]
	v_add_u32_e32 v3, 1, v2
	v_cmp_le_u32_e64 s[0:1], s12, v0
	v_cndmask_b32_e64 v0, v2, v3, s[0:1]
	v_addc_co_u32_e32 v0, vcc, 1, v0, vcc
	v_cmp_lt_u32_e32 vcc, 1, v0
	s_mov_b64 s[0:1], -1
	s_and_saveexec_b64 s[4:5], vcc
	s_cbranch_execz .LBB18_5
; %bb.2:
	v_add_u32_e32 v2, s12, v1
	v_and_b32_e32 v4, -2, v0
	s_pack_ll_b32_b16 s1, s23, s23
	s_pack_ll_b32_b16 s2, s21, s21
	s_lshl_b32 s25, s12, 1
	v_mov_b32_e32 v3, v2
	s_mov_b32 s14, s8
	s_mov_b32 s15, s9
	;; [unrolled: 1-line block ×5, first 2 shown]
	s_pack_ll_b32_b16 s24, s22, s22
	s_mov_b32 s26, s25
	s_mov_b64 s[18:19], 0
	v_mov_b32_e32 v5, s7
	v_mov_b32_e32 v6, s7
	;; [unrolled: 1-line block ×7, first 2 shown]
.LBB18_3:                               ; =>This Inner Loop Header: Depth=1
	v_xor_b32_e32 v15, -1, v3
	v_ashrrev_i32_e32 v16, 31, v15
	v_add_co_u32_e64 v15, s[2:3], s13, v15
	v_xor_b32_e32 v17, -1, v2
	v_addc_co_u32_e64 v16, s[2:3], v5, v16, s[2:3]
	v_ashrrev_i32_e32 v18, 31, v17
	v_add_co_u32_e64 v17, s[2:3], s6, v17
	v_addc_co_u32_e64 v18, s[2:3], v6, v18, s[2:3]
	v_xor_b32_e32 v19, v17, v18
	v_ashrrev_i32_e32 v19, 31, v19
	v_ffbh_i32_e32 v20, v18
	v_add_u32_e32 v19, 32, v19
	v_add_u32_e32 v20, -1, v20
	v_min_u32_e32 v19, v20, v19
	v_lshlrev_b64 v[17:18], v19, v[17:18]
	v_ashrrev_i32_e32 v14, 31, v2
	v_min_u32_e32 v17, 1, v17
	v_or_b32_e32 v17, v18, v17
	v_cvt_f32_i32_e32 v17, v17
	v_sub_u32_e32 v18, 32, v19
	v_ffbh_i32_e32 v19, v16
	v_add_u32_e32 v19, -1, v19
	v_ldexp_f32 v17, v17, v18
	v_xor_b32_e32 v18, v15, v16
	v_ashrrev_i32_e32 v18, 31, v18
	v_add_u32_e32 v18, 32, v18
	v_min_u32_e32 v18, v19, v18
	v_lshlrev_b64 v[15:16], v18, v[15:16]
	v_mov_b32_e32 v13, v2
	v_min_u32_e32 v15, 1, v15
	v_or_b32_e32 v15, v16, v15
	v_cvt_f32_i32_e32 v15, v15
	v_sub_u32_e32 v16, 32, v18
	v_cmp_gt_i64_e32 vcc, s[14:15], v[13:14]
	v_lshlrev_b64 v[13:14], 1, v[13:14]
	v_ldexp_f32 v15, v15, v16
	v_cvt_f16_f32_e32 v15, v15
	v_cvt_f16_f32_e32 v16, v17
	v_cvt_f32_i32_e32 v17, v3
	v_ashrrev_i32_e32 v12, 31, v3
	v_mov_b32_e32 v11, v3
	v_pack_b32_f16 v15, v16, v15
	v_cvt_f32_i32_e32 v16, v2
	v_cvt_f16_f32_e32 v17, v17
	v_pk_fma_f16 v15, s24, v15, v7 neg_lo:[1,0,0] neg_hi:[1,0,0]
	v_cmp_gt_i64_e64 s[0:1], s[16:17], v[11:12]
	v_cvt_f16_f32_e32 v16, v16
	v_lshlrev_b64 v[11:12], 1, v[11:12]
	v_add_u32_e32 v10, -2, v10
	v_add_u32_e32 v3, s26, v3
	v_pack_b32_f16 v16, v16, v17
	v_pk_fma_f16 v16, s24, v16, v8
	v_lshrrev_b32_e32 v17, 16, v15
	v_cndmask_b32_e32 v15, v15, v16, vcc
	v_add_co_u32_e32 v13, vcc, s10, v13
	v_addc_co_u32_e32 v14, vcc, v9, v14, vcc
	v_add_co_u32_e32 v11, vcc, s10, v11
	v_addc_co_u32_e32 v12, vcc, v9, v12, vcc
	v_cmp_eq_u32_e32 vcc, 0, v10
	v_lshrrev_b32_e32 v18, 16, v16
	v_add_u32_e32 v2, s25, v2
	s_or_b64 s[18:19], vcc, s[18:19]
	v_cndmask_b32_e64 v17, v17, v18, s[0:1]
	global_store_short v[13:14], v15, off
	global_store_short v[11:12], v17, off
	s_andn2_b64 exec, exec, s[18:19]
	s_cbranch_execnz .LBB18_3
; %bb.4:
	s_or_b64 exec, exec, s[18:19]
	v_mad_u64_u32 v[1:2], s[0:1], v4, s12, v[1:2]
	v_cmp_ne_u32_e32 vcc, v0, v4
	s_orn2_b64 s[0:1], vcc, exec
.LBB18_5:
	s_or_b64 exec, exec, s[4:5]
	s_and_b64 exec, exec, s[0:1]
	s_cbranch_execz .LBB18_12
; %bb.6:
	v_ashrrev_i32_e32 v2, 31, v1
	v_not_b32_e32 v3, v1
	v_not_b32_e32 v0, v2
	v_mov_b32_e32 v4, s7
	v_add_co_u32_e32 v3, vcc, s6, v3
	v_lshlrev_b64 v[5:6], 1, v[1:2]
	v_addc_co_u32_e32 v4, vcc, v0, v4, vcc
	s_ashr_i32 s13, s12, 31
	v_mov_b32_e32 v0, s11
	v_add_co_u32_e32 v5, vcc, s10, v5
	s_lshl_b64 s[0:1], s[12:13], 1
	v_addc_co_u32_e32 v6, vcc, v0, v6, vcc
	s_mov_b64 s[2:3], 0
	v_mov_b32_e32 v0, s13
	v_mov_b32_e32 v7, s1
	s_branch .LBB18_8
.LBB18_7:                               ;   in Loop: Header=BB18_8 Depth=1
	s_or_b64 exec, exec, s[4:5]
	v_add_co_u32_e32 v1, vcc, s12, v1
	v_addc_co_u32_e32 v2, vcc, v2, v0, vcc
	v_subrev_co_u32_e32 v3, vcc, s12, v3
	v_subb_co_u32_e32 v4, vcc, v4, v0, vcc
	v_cmp_le_i32_e32 vcc, s20, v1
	global_store_short v[5:6], v8, off
	s_or_b64 s[2:3], vcc, s[2:3]
	v_add_co_u32_e32 v5, vcc, s0, v5
	v_addc_co_u32_e32 v6, vcc, v6, v7, vcc
	s_andn2_b64 exec, exec, s[2:3]
	s_cbranch_execz .LBB18_12
.LBB18_8:                               ; =>This Inner Loop Header: Depth=1
	v_cmp_le_i64_e32 vcc, s[8:9], v[1:2]
                                        ; implicit-def: $vgpr8
	s_and_saveexec_b64 s[4:5], vcc
	s_xor_b64 s[4:5], exec, s[4:5]
	s_cbranch_execz .LBB18_10
; %bb.9:                                ;   in Loop: Header=BB18_8 Depth=1
	v_xor_b32_e32 v9, v3, v4
	v_ffbh_i32_e32 v8, v4
	v_ashrrev_i32_e32 v9, 31, v9
	v_add_u32_e32 v8, -1, v8
	v_add_u32_e32 v9, 32, v9
	v_min_u32_e32 v10, v8, v9
	v_lshlrev_b64 v[8:9], v10, v[3:4]
	v_min_u32_e32 v8, 1, v8
	v_or_b32_e32 v8, v9, v8
	v_cvt_f32_i32_e32 v8, v8
	v_sub_u32_e32 v9, 32, v10
	v_ldexp_f32 v8, v8, v9
	v_cvt_f16_f32_e32 v8, v8
	v_mov_b32_e32 v9, s23
	v_fma_f16 v8, -s22, v8, v9
.LBB18_10:                              ;   in Loop: Header=BB18_8 Depth=1
	s_andn2_saveexec_b64 s[4:5], s[4:5]
	s_cbranch_execz .LBB18_7
; %bb.11:                               ;   in Loop: Header=BB18_8 Depth=1
	v_cvt_f32_i32_e32 v8, v1
	v_mov_b32_e32 v9, s21
	v_cvt_f16_f32_e32 v8, v8
	v_fma_f16 v8, s22, v8, v9
	s_branch .LBB18_7
.LBB18_12:
	s_endpgm
	.section	.rodata,"a",@progbits
	.p2align	6, 0x0
	.amdhsa_kernel _ZN12_GLOBAL__N_141elementwise_kernel_with_index_grid_strideIiZZZN2at6native17linspace_cuda_outERKN3c106ScalarES6_lRNS1_6TensorEENKUlvE0_clEvENKUlvE3_clEvEUllE_EEvT_T0_PN15function_traitsISD_E11result_typeE
		.amdhsa_group_segment_fixed_size 0
		.amdhsa_private_segment_fixed_size 0
		.amdhsa_kernarg_size 304
		.amdhsa_user_sgpr_count 6
		.amdhsa_user_sgpr_private_segment_buffer 1
		.amdhsa_user_sgpr_dispatch_ptr 0
		.amdhsa_user_sgpr_queue_ptr 0
		.amdhsa_user_sgpr_kernarg_segment_ptr 1
		.amdhsa_user_sgpr_dispatch_id 0
		.amdhsa_user_sgpr_flat_scratch_init 0
		.amdhsa_user_sgpr_private_segment_size 0
		.amdhsa_uses_dynamic_stack 0
		.amdhsa_system_sgpr_private_segment_wavefront_offset 0
		.amdhsa_system_sgpr_workgroup_id_x 1
		.amdhsa_system_sgpr_workgroup_id_y 0
		.amdhsa_system_sgpr_workgroup_id_z 0
		.amdhsa_system_sgpr_workgroup_info 0
		.amdhsa_system_vgpr_workitem_id 0
		.amdhsa_next_free_vgpr 21
		.amdhsa_next_free_sgpr 27
		.amdhsa_reserve_vcc 1
		.amdhsa_reserve_flat_scratch 0
		.amdhsa_float_round_mode_32 0
		.amdhsa_float_round_mode_16_64 0
		.amdhsa_float_denorm_mode_32 3
		.amdhsa_float_denorm_mode_16_64 3
		.amdhsa_dx10_clamp 1
		.amdhsa_ieee_mode 1
		.amdhsa_fp16_overflow 0
		.amdhsa_exception_fp_ieee_invalid_op 0
		.amdhsa_exception_fp_denorm_src 0
		.amdhsa_exception_fp_ieee_div_zero 0
		.amdhsa_exception_fp_ieee_overflow 0
		.amdhsa_exception_fp_ieee_underflow 0
		.amdhsa_exception_fp_ieee_inexact 0
		.amdhsa_exception_int_div_zero 0
	.end_amdhsa_kernel
	.section	.text._ZN12_GLOBAL__N_141elementwise_kernel_with_index_grid_strideIiZZZN2at6native17linspace_cuda_outERKN3c106ScalarES6_lRNS1_6TensorEENKUlvE0_clEvENKUlvE3_clEvEUllE_EEvT_T0_PN15function_traitsISD_E11result_typeE,"axG",@progbits,_ZN12_GLOBAL__N_141elementwise_kernel_with_index_grid_strideIiZZZN2at6native17linspace_cuda_outERKN3c106ScalarES6_lRNS1_6TensorEENKUlvE0_clEvENKUlvE3_clEvEUllE_EEvT_T0_PN15function_traitsISD_E11result_typeE,comdat
.Lfunc_end18:
	.size	_ZN12_GLOBAL__N_141elementwise_kernel_with_index_grid_strideIiZZZN2at6native17linspace_cuda_outERKN3c106ScalarES6_lRNS1_6TensorEENKUlvE0_clEvENKUlvE3_clEvEUllE_EEvT_T0_PN15function_traitsISD_E11result_typeE, .Lfunc_end18-_ZN12_GLOBAL__N_141elementwise_kernel_with_index_grid_strideIiZZZN2at6native17linspace_cuda_outERKN3c106ScalarES6_lRNS1_6TensorEENKUlvE0_clEvENKUlvE3_clEvEUllE_EEvT_T0_PN15function_traitsISD_E11result_typeE
                                        ; -- End function
	.set _ZN12_GLOBAL__N_141elementwise_kernel_with_index_grid_strideIiZZZN2at6native17linspace_cuda_outERKN3c106ScalarES6_lRNS1_6TensorEENKUlvE0_clEvENKUlvE3_clEvEUllE_EEvT_T0_PN15function_traitsISD_E11result_typeE.num_vgpr, 21
	.set _ZN12_GLOBAL__N_141elementwise_kernel_with_index_grid_strideIiZZZN2at6native17linspace_cuda_outERKN3c106ScalarES6_lRNS1_6TensorEENKUlvE0_clEvENKUlvE3_clEvEUllE_EEvT_T0_PN15function_traitsISD_E11result_typeE.num_agpr, 0
	.set _ZN12_GLOBAL__N_141elementwise_kernel_with_index_grid_strideIiZZZN2at6native17linspace_cuda_outERKN3c106ScalarES6_lRNS1_6TensorEENKUlvE0_clEvENKUlvE3_clEvEUllE_EEvT_T0_PN15function_traitsISD_E11result_typeE.numbered_sgpr, 27
	.set _ZN12_GLOBAL__N_141elementwise_kernel_with_index_grid_strideIiZZZN2at6native17linspace_cuda_outERKN3c106ScalarES6_lRNS1_6TensorEENKUlvE0_clEvENKUlvE3_clEvEUllE_EEvT_T0_PN15function_traitsISD_E11result_typeE.num_named_barrier, 0
	.set _ZN12_GLOBAL__N_141elementwise_kernel_with_index_grid_strideIiZZZN2at6native17linspace_cuda_outERKN3c106ScalarES6_lRNS1_6TensorEENKUlvE0_clEvENKUlvE3_clEvEUllE_EEvT_T0_PN15function_traitsISD_E11result_typeE.private_seg_size, 0
	.set _ZN12_GLOBAL__N_141elementwise_kernel_with_index_grid_strideIiZZZN2at6native17linspace_cuda_outERKN3c106ScalarES6_lRNS1_6TensorEENKUlvE0_clEvENKUlvE3_clEvEUllE_EEvT_T0_PN15function_traitsISD_E11result_typeE.uses_vcc, 1
	.set _ZN12_GLOBAL__N_141elementwise_kernel_with_index_grid_strideIiZZZN2at6native17linspace_cuda_outERKN3c106ScalarES6_lRNS1_6TensorEENKUlvE0_clEvENKUlvE3_clEvEUllE_EEvT_T0_PN15function_traitsISD_E11result_typeE.uses_flat_scratch, 0
	.set _ZN12_GLOBAL__N_141elementwise_kernel_with_index_grid_strideIiZZZN2at6native17linspace_cuda_outERKN3c106ScalarES6_lRNS1_6TensorEENKUlvE0_clEvENKUlvE3_clEvEUllE_EEvT_T0_PN15function_traitsISD_E11result_typeE.has_dyn_sized_stack, 0
	.set _ZN12_GLOBAL__N_141elementwise_kernel_with_index_grid_strideIiZZZN2at6native17linspace_cuda_outERKN3c106ScalarES6_lRNS1_6TensorEENKUlvE0_clEvENKUlvE3_clEvEUllE_EEvT_T0_PN15function_traitsISD_E11result_typeE.has_recursion, 0
	.set _ZN12_GLOBAL__N_141elementwise_kernel_with_index_grid_strideIiZZZN2at6native17linspace_cuda_outERKN3c106ScalarES6_lRNS1_6TensorEENKUlvE0_clEvENKUlvE3_clEvEUllE_EEvT_T0_PN15function_traitsISD_E11result_typeE.has_indirect_call, 0
	.section	.AMDGPU.csdata,"",@progbits
; Kernel info:
; codeLenInByte = 984
; TotalNumSgprs: 31
; NumVgprs: 21
; ScratchSize: 0
; MemoryBound: 0
; FloatMode: 240
; IeeeMode: 1
; LDSByteSize: 0 bytes/workgroup (compile time only)
; SGPRBlocks: 3
; VGPRBlocks: 5
; NumSGPRsForWavesPerEU: 31
; NumVGPRsForWavesPerEU: 21
; Occupancy: 10
; WaveLimiterHint : 0
; COMPUTE_PGM_RSRC2:SCRATCH_EN: 0
; COMPUTE_PGM_RSRC2:USER_SGPR: 6
; COMPUTE_PGM_RSRC2:TRAP_HANDLER: 0
; COMPUTE_PGM_RSRC2:TGID_X_EN: 1
; COMPUTE_PGM_RSRC2:TGID_Y_EN: 0
; COMPUTE_PGM_RSRC2:TGID_Z_EN: 0
; COMPUTE_PGM_RSRC2:TIDIG_COMP_CNT: 0
	.section	.text._ZN12_GLOBAL__N_141elementwise_kernel_with_index_grid_strideIlZZZN2at6native17linspace_cuda_outERKN3c106ScalarES6_lRNS1_6TensorEENKUlvE0_clEvENKUlvE3_clEvEUllE_EEvT_T0_PN15function_traitsISD_E11result_typeE,"axG",@progbits,_ZN12_GLOBAL__N_141elementwise_kernel_with_index_grid_strideIlZZZN2at6native17linspace_cuda_outERKN3c106ScalarES6_lRNS1_6TensorEENKUlvE0_clEvENKUlvE3_clEvEUllE_EEvT_T0_PN15function_traitsISD_E11result_typeE,comdat
	.globl	_ZN12_GLOBAL__N_141elementwise_kernel_with_index_grid_strideIlZZZN2at6native17linspace_cuda_outERKN3c106ScalarES6_lRNS1_6TensorEENKUlvE0_clEvENKUlvE3_clEvEUllE_EEvT_T0_PN15function_traitsISD_E11result_typeE ; -- Begin function _ZN12_GLOBAL__N_141elementwise_kernel_with_index_grid_strideIlZZZN2at6native17linspace_cuda_outERKN3c106ScalarES6_lRNS1_6TensorEENKUlvE0_clEvENKUlvE3_clEvEUllE_EEvT_T0_PN15function_traitsISD_E11result_typeE
	.p2align	8
	.type	_ZN12_GLOBAL__N_141elementwise_kernel_with_index_grid_strideIlZZZN2at6native17linspace_cuda_outERKN3c106ScalarES6_lRNS1_6TensorEENKUlvE0_clEvENKUlvE3_clEvEUllE_EEvT_T0_PN15function_traitsISD_E11result_typeE,@function
_ZN12_GLOBAL__N_141elementwise_kernel_with_index_grid_strideIlZZZN2at6native17linspace_cuda_outERKN3c106ScalarES6_lRNS1_6TensorEENKUlvE0_clEvENKUlvE3_clEvEUllE_EEvT_T0_PN15function_traitsISD_E11result_typeE: ; @_ZN12_GLOBAL__N_141elementwise_kernel_with_index_grid_strideIlZZZN2at6native17linspace_cuda_outERKN3c106ScalarES6_lRNS1_6TensorEENKUlvE0_clEvENKUlvE3_clEvEUllE_EEvT_T0_PN15function_traitsISD_E11result_typeE
; %bb.0:
	s_load_dword s2, s[4:5], 0x3c
	s_load_dwordx2 s[12:13], s[4:5], 0x0
	s_add_u32 s0, s4, 48
	s_addc_u32 s1, s5, 0
	v_mov_b32_e32 v1, 0
	s_waitcnt lgkmcnt(0)
	s_and_b32 s2, s2, 0xffff
	v_mov_b32_e32 v2, s6
	v_mad_u64_u32 v[2:3], s[8:9], s2, v2, v[0:1]
	v_cmp_gt_i64_e32 vcc, s[12:13], v[2:3]
	s_and_saveexec_b64 s[8:9], vcc
	s_cbranch_execz .LBB19_18
; %bb.1:
	s_load_dword s3, s[0:1], 0x0
	v_mov_b32_e32 v4, s2
	v_mov_b32_e32 v7, s13
	;; [unrolled: 1-line block ×3, first 2 shown]
	s_waitcnt lgkmcnt(0)
	s_add_u32 s0, s6, s3
	v_mad_u64_u32 v[5:6], s[0:1], s0, v4, v[0:1]
	s_addc_u32 s0, 0, 0
	s_mul_i32 s0, s0, s2
	v_add_u32_e32 v6, s0, v6
	v_cmp_gt_i64_e32 vcc, s[12:13], v[5:6]
	s_mul_hi_u32 s7, s2, s3
	v_cndmask_b32_e64 v4, 0, 1, vcc
	v_cndmask_b32_e32 v0, v6, v7, vcc
	v_cndmask_b32_e32 v7, v5, v8, vcc
	v_add_co_u32_e32 v5, vcc, v5, v4
	v_addc_co_u32_e32 v6, vcc, 0, v6, vcc
	v_sub_co_u32_e32 v5, vcc, v7, v5
	v_subb_co_u32_e32 v6, vcc, v0, v6, vcc
	v_or_b32_e32 v8, s7, v6
	v_mov_b32_e32 v7, v1
	v_cmp_ne_u64_e32 vcc, 0, v[7:8]
	s_mul_i32 s6, s2, s3
                                        ; implicit-def: $vgpr0_vgpr1
	s_and_saveexec_b64 s[0:1], vcc
	s_xor_b64 s[2:3], exec, s[0:1]
	s_cbranch_execz .LBB19_3
; %bb.2:
	v_cvt_f32_u32_e32 v0, s6
	v_cvt_f32_u32_e32 v1, s7
	s_sub_u32 s8, 0, s6
	s_subb_u32 s9, 0, s7
	v_madmk_f32 v0, v1, 0x4f800000, v0
	v_rcp_f32_e32 v0, v0
	v_mul_f32_e32 v0, 0x5f7ffffc, v0
	v_mul_f32_e32 v1, 0x2f800000, v0
	v_trunc_f32_e32 v1, v1
	v_madmk_f32 v0, v1, 0xcf800000, v0
	v_cvt_u32_f32_e32 v1, v1
	v_cvt_u32_f32_e32 v0, v0
	v_readfirstlane_b32 s10, v1
	v_readfirstlane_b32 s0, v0
	s_mul_i32 s1, s8, s10
	s_mul_hi_u32 s14, s8, s0
	s_mul_i32 s11, s9, s0
	s_add_i32 s1, s14, s1
	s_mul_i32 s15, s8, s0
	s_add_i32 s1, s1, s11
	s_mul_i32 s14, s0, s1
	s_mul_hi_u32 s16, s0, s15
	s_mul_hi_u32 s11, s0, s1
	s_add_u32 s14, s16, s14
	s_addc_u32 s11, 0, s11
	s_mul_hi_u32 s17, s10, s15
	s_mul_i32 s15, s10, s15
	s_add_u32 s14, s14, s15
	s_mul_hi_u32 s16, s10, s1
	s_addc_u32 s11, s11, s17
	s_addc_u32 s14, s16, 0
	s_mul_i32 s1, s10, s1
	s_add_u32 s1, s11, s1
	s_addc_u32 s11, 0, s14
	s_add_u32 s14, s0, s1
	s_cselect_b64 s[0:1], -1, 0
	s_cmp_lg_u64 s[0:1], 0
	s_addc_u32 s10, s10, s11
	s_mul_i32 s0, s8, s10
	s_mul_hi_u32 s1, s8, s14
	s_add_i32 s0, s1, s0
	s_mul_i32 s9, s9, s14
	s_add_i32 s0, s0, s9
	s_mul_i32 s8, s8, s14
	s_mul_hi_u32 s9, s10, s8
	s_mul_i32 s11, s10, s8
	s_mul_i32 s16, s14, s0
	s_mul_hi_u32 s8, s14, s8
	s_mul_hi_u32 s15, s14, s0
	s_add_u32 s8, s8, s16
	s_addc_u32 s15, 0, s15
	s_add_u32 s8, s8, s11
	s_mul_hi_u32 s1, s10, s0
	s_addc_u32 s8, s15, s9
	s_addc_u32 s1, s1, 0
	s_mul_i32 s0, s10, s0
	s_add_u32 s0, s8, s0
	s_addc_u32 s8, 0, s1
	s_add_u32 s9, s14, s0
	s_cselect_b64 s[0:1], -1, 0
	s_cmp_lg_u64 s[0:1], 0
	s_addc_u32 s8, s10, s8
	v_mad_u64_u32 v[0:1], s[0:1], v5, s8, 0
	v_mul_hi_u32 v7, v5, s9
	v_add_co_u32_e32 v9, vcc, v7, v0
	v_addc_co_u32_e32 v10, vcc, 0, v1, vcc
	v_mad_u64_u32 v[0:1], s[0:1], v6, s9, 0
	v_mad_u64_u32 v[7:8], s[0:1], v6, s8, 0
	v_add_co_u32_e32 v0, vcc, v9, v0
	v_addc_co_u32_e32 v0, vcc, v10, v1, vcc
	v_addc_co_u32_e32 v1, vcc, 0, v8, vcc
	v_add_co_u32_e32 v7, vcc, v0, v7
	v_addc_co_u32_e32 v8, vcc, 0, v1, vcc
	v_mul_lo_u32 v9, s7, v7
	v_mul_lo_u32 v10, s6, v8
	v_mad_u64_u32 v[0:1], s[0:1], s6, v7, 0
	v_add3_u32 v1, v1, v10, v9
	v_sub_u32_e32 v9, v6, v1
	v_mov_b32_e32 v10, s7
	v_sub_co_u32_e32 v0, vcc, v5, v0
	v_subb_co_u32_e64 v5, s[0:1], v9, v10, vcc
	v_subrev_co_u32_e64 v9, s[0:1], s6, v0
	v_subbrev_co_u32_e64 v5, s[0:1], 0, v5, s[0:1]
	v_cmp_le_u32_e64 s[0:1], s7, v5
	v_cndmask_b32_e64 v10, 0, -1, s[0:1]
	v_cmp_le_u32_e64 s[0:1], s6, v9
	v_cndmask_b32_e64 v9, 0, -1, s[0:1]
	v_cmp_eq_u32_e64 s[0:1], s7, v5
	v_cndmask_b32_e64 v5, v10, v9, s[0:1]
	v_add_co_u32_e64 v9, s[0:1], 2, v7
	v_subb_co_u32_e32 v1, vcc, v6, v1, vcc
	v_addc_co_u32_e64 v10, s[0:1], 0, v8, s[0:1]
	v_cmp_le_u32_e32 vcc, s7, v1
	v_add_co_u32_e64 v11, s[0:1], 1, v7
	v_cndmask_b32_e64 v6, 0, -1, vcc
	v_cmp_le_u32_e32 vcc, s6, v0
	v_addc_co_u32_e64 v12, s[0:1], 0, v8, s[0:1]
	v_cndmask_b32_e64 v0, 0, -1, vcc
	v_cmp_eq_u32_e32 vcc, s7, v1
	v_cmp_ne_u32_e64 s[0:1], 0, v5
	v_cndmask_b32_e32 v0, v6, v0, vcc
	v_cndmask_b32_e64 v5, v12, v10, s[0:1]
	v_cmp_ne_u32_e32 vcc, 0, v0
	v_cndmask_b32_e64 v0, v11, v9, s[0:1]
	v_cndmask_b32_e32 v1, v8, v5, vcc
	v_cndmask_b32_e32 v0, v7, v0, vcc
                                        ; implicit-def: $vgpr5
.LBB19_3:
	s_or_saveexec_b64 s[0:1], s[2:3]
	s_load_dword s26, s[4:5], 0x8
	s_load_dwordx2 s[14:15], s[4:5], 0x10
	s_load_dwordx4 s[8:11], s[4:5], 0x20
	s_xor_b64 exec, exec, s[0:1]
	s_cbranch_execz .LBB19_5
; %bb.4:
	v_cvt_f32_u32_e32 v0, s6
	s_sub_i32 s2, 0, s6
	v_rcp_iflag_f32_e32 v0, v0
	v_mul_f32_e32 v0, 0x4f7ffffe, v0
	v_cvt_u32_f32_e32 v0, v0
	v_mul_lo_u32 v1, s2, v0
	v_mul_hi_u32 v1, v0, v1
	v_add_u32_e32 v0, v0, v1
	v_mul_hi_u32 v0, v5, v0
	v_mul_lo_u32 v1, v0, s6
	v_add_u32_e32 v6, 1, v0
	v_sub_u32_e32 v1, v5, v1
	v_subrev_u32_e32 v5, s6, v1
	v_cmp_le_u32_e32 vcc, s6, v1
	v_cndmask_b32_e32 v1, v1, v5, vcc
	v_cndmask_b32_e32 v0, v0, v6, vcc
	v_add_u32_e32 v5, 1, v0
	v_cmp_le_u32_e32 vcc, s6, v1
	v_cndmask_b32_e32 v0, v0, v5, vcc
	v_mov_b32_e32 v1, 0
.LBB19_5:
	s_or_b64 exec, exec, s[0:1]
	v_add_co_u32_e32 v0, vcc, v0, v4
	s_load_dword s27, s[4:5], 0x18
	v_addc_co_u32_e32 v1, vcc, 0, v1, vcc
	v_add_co_u32_e32 v0, vcc, 1, v0
	v_addc_co_u32_e32 v1, vcc, 0, v1, vcc
	v_cmp_lt_u64_e32 vcc, 1, v[0:1]
	s_waitcnt lgkmcnt(0)
	s_lshr_b32 s28, s26, 16
	s_mov_b64 s[0:1], 0
                                        ; implicit-def: $vgpr4_vgpr5
	s_and_saveexec_b64 s[2:3], vcc
	s_xor_b64 s[4:5], exec, s[2:3]
	s_cbranch_execnz .LBB19_8
; %bb.6:
	s_andn2_saveexec_b64 s[2:3], s[4:5]
	s_cbranch_execnz .LBB19_11
.LBB19_7:
	s_or_b64 exec, exec, s[2:3]
	s_and_b64 exec, exec, s[0:1]
	s_cbranch_execnz .LBB19_12
	s_branch .LBB19_18
.LBB19_8:
	v_mov_b32_e32 v5, s7
	v_add_co_u32_e32 v4, vcc, s6, v2
	v_lshlrev_b64 v[6:7], 1, v[2:3]
	v_addc_co_u32_e32 v5, vcc, v3, v5, vcc
	v_mov_b32_e32 v9, v1
	v_mov_b32_e32 v11, s11
	v_add_co_u32_e32 v10, vcc, s10, v6
	v_and_b32_e32 v8, -2, v0
	s_pack_ll_b32_b16 s1, s28, s28
	s_pack_ll_b32_b16 s2, s26, s26
	s_lshl_b64 s[20:21], s[6:7], 1
	v_addc_co_u32_e32 v11, vcc, v11, v7, vcc
	s_lshl_b64 s[24:25], s[6:7], 2
	v_mov_b32_e32 v13, v9
	v_mov_b32_e32 v7, v5
	s_mov_b32 s16, s8
	s_mov_b32 s17, s9
	;; [unrolled: 1-line block ×5, first 2 shown]
	s_pack_ll_b32_b16 s30, s27, s27
	s_mov_b32 s31, s20
	s_mov_b64 s[22:23], 0
	v_mov_b32_e32 v14, s15
	v_mov_b32_e32 v15, s15
	;; [unrolled: 1-line block ×12, first 2 shown]
.LBB19_9:                               ; =>This Inner Loop Header: Depth=1
	v_not_b32_e32 v22, v6
	v_not_b32_e32 v23, v7
	v_add_co_u32_e64 v22, s[2:3], s29, v22
	v_not_b32_e32 v24, v4
	v_addc_co_u32_e64 v23, s[2:3], v14, v23, s[2:3]
	v_not_b32_e32 v25, v5
	v_add_co_u32_e64 v24, s[2:3], s14, v24
	v_addc_co_u32_e64 v25, s[2:3], v15, v25, s[2:3]
	v_xor_b32_e32 v26, v24, v25
	v_ashrrev_i32_e32 v26, 31, v26
	v_ffbh_i32_e32 v27, v25
	v_add_u32_e32 v26, 32, v26
	v_add_u32_e32 v27, -1, v27
	v_min_u32_e32 v26, v27, v26
	v_lshlrev_b64 v[24:25], v26, v[24:25]
	v_cmp_gt_i64_e32 vcc, s[16:17], v[4:5]
	v_min_u32_e32 v24, 1, v24
	v_or_b32_e32 v24, v25, v24
	v_cvt_f32_i32_e32 v24, v24
	v_sub_u32_e32 v25, 32, v26
	v_ffbh_i32_e32 v26, v23
	v_add_u32_e32 v26, -1, v26
	v_ldexp_f32 v24, v24, v25
	v_xor_b32_e32 v25, v22, v23
	v_ashrrev_i32_e32 v25, 31, v25
	v_add_u32_e32 v25, 32, v25
	v_min_u32_e32 v25, v26, v25
	v_lshlrev_b64 v[22:23], v25, v[22:23]
	v_cmp_gt_i64_e64 s[0:1], s[18:19], v[6:7]
	v_min_u32_e32 v22, 1, v22
	v_or_b32_e32 v22, v23, v22
	v_cvt_f32_i32_e32 v22, v22
	v_sub_u32_e32 v23, 32, v25
	v_ldexp_f32 v22, v22, v23
	v_cvt_f16_f32_e32 v22, v22
	v_cvt_f16_f32_e32 v23, v24
	v_pack_b32_f16 v22, v23, v22
	v_pk_fma_f16 v24, s30, v22, v16 neg_lo:[1,0,0] neg_hi:[1,0,0]
	v_ffbh_u32_e32 v22, v5
	v_min_u32_e32 v25, 32, v22
	v_lshlrev_b64 v[22:23], v25, v[4:5]
	v_min_u32_e32 v22, 1, v22
	v_or_b32_e32 v22, v23, v22
	v_cvt_f32_u32_e32 v22, v22
	v_sub_u32_e32 v23, 32, v25
	v_ldexp_f32 v25, v22, v23
	v_ffbh_u32_e32 v22, v7
	v_min_u32_e32 v26, 32, v22
	v_lshlrev_b64 v[22:23], v26, v[6:7]
	v_min_u32_e32 v22, 1, v22
	v_or_b32_e32 v22, v23, v22
	v_cvt_f32_u32_e32 v22, v22
	v_sub_u32_e32 v23, 32, v26
	v_ldexp_f32 v22, v22, v23
	v_cvt_f16_f32_e32 v22, v22
	v_cvt_f16_f32_e32 v23, v25
	v_pack_b32_f16 v22, v23, v22
	v_pk_fma_f16 v22, s30, v22, v17
	v_lshrrev_b32_e32 v23, 16, v24
	v_lshrrev_b32_e32 v25, 16, v22
	v_cndmask_b32_e32 v24, v24, v22, vcc
	v_add_co_u32_e32 v22, vcc, s20, v10
	v_cndmask_b32_e64 v25, v23, v25, s[0:1]
	v_addc_co_u32_e32 v23, vcc, v11, v18, vcc
	v_add_co_u32_e32 v6, vcc, s31, v6
	v_addc_co_u32_e32 v7, vcc, v7, v19, vcc
	v_add_co_u32_e32 v4, vcc, s20, v4
	v_addc_co_u32_e32 v5, vcc, v5, v20, vcc
	v_add_co_u32_e32 v12, vcc, -2, v12
	v_addc_co_u32_e32 v13, vcc, -1, v13, vcc
	global_store_short v[10:11], v24, off
	global_store_short v[22:23], v25, off
	v_add_co_u32_e32 v10, vcc, s24, v10
	v_addc_co_u32_e32 v11, vcc, v11, v21, vcc
	v_cmp_eq_u64_e32 vcc, 0, v[12:13]
	s_or_b64 s[22:23], vcc, s[22:23]
	s_andn2_b64 exec, exec, s[22:23]
	s_cbranch_execnz .LBB19_9
; %bb.10:
	s_or_b64 exec, exec, s[22:23]
	v_mad_u64_u32 v[2:3], s[0:1], v8, s6, v[2:3]
	v_mul_lo_u32 v4, v8, s7
	v_mul_lo_u32 v5, v9, s6
	v_cmp_ne_u64_e32 vcc, v[0:1], v[8:9]
	s_and_b64 s[0:1], vcc, exec
	v_add3_u32 v3, v5, v3, v4
	v_mov_b32_e32 v4, s20
	v_mov_b32_e32 v5, s21
	s_andn2_saveexec_b64 s[2:3], s[4:5]
	s_cbranch_execz .LBB19_7
.LBB19_11:
	s_lshl_b64 s[4:5], s[6:7], 1
	v_mov_b32_e32 v4, s4
	v_mov_b32_e32 v5, s5
	s_or_b64 s[0:1], s[0:1], exec
	s_or_b64 exec, exec, s[2:3]
	s_and_b64 exec, exec, s[0:1]
	s_cbranch_execz .LBB19_18
.LBB19_12:
	v_not_b32_e32 v0, v2
	v_not_b32_e32 v1, v3
	v_mov_b32_e32 v6, s15
	v_add_co_u32_e32 v0, vcc, s14, v0
	v_addc_co_u32_e32 v1, vcc, v1, v6, vcc
	v_lshlrev_b64 v[6:7], 1, v[2:3]
	v_mov_b32_e32 v8, s11
	v_add_co_u32_e32 v6, vcc, s10, v6
	v_addc_co_u32_e32 v7, vcc, v8, v7, vcc
	s_mov_b64 s[2:3], 0
	v_mov_b32_e32 v8, s7
	s_branch .LBB19_14
.LBB19_13:                              ;   in Loop: Header=BB19_14 Depth=1
	s_or_b64 exec, exec, s[0:1]
	v_add_co_u32_e32 v2, vcc, s6, v2
	v_addc_co_u32_e32 v3, vcc, v3, v8, vcc
	v_cmp_le_i64_e32 vcc, s[12:13], v[2:3]
	global_store_short v[6:7], v9, off
	v_subrev_co_u32_e64 v0, s[0:1], s6, v0
	s_or_b64 s[2:3], vcc, s[2:3]
	v_add_co_u32_e32 v6, vcc, v6, v4
	v_subb_co_u32_e64 v1, s[0:1], v1, v8, s[0:1]
	v_addc_co_u32_e32 v7, vcc, v7, v5, vcc
	s_andn2_b64 exec, exec, s[2:3]
	s_cbranch_execz .LBB19_18
.LBB19_14:                              ; =>This Inner Loop Header: Depth=1
	v_cmp_le_i64_e32 vcc, s[8:9], v[2:3]
                                        ; implicit-def: $vgpr9
	s_and_saveexec_b64 s[0:1], vcc
	s_xor_b64 s[0:1], exec, s[0:1]
	s_cbranch_execz .LBB19_16
; %bb.15:                               ;   in Loop: Header=BB19_14 Depth=1
	v_xor_b32_e32 v10, v0, v1
	v_ffbh_i32_e32 v9, v1
	v_ashrrev_i32_e32 v10, 31, v10
	v_add_u32_e32 v9, -1, v9
	v_add_u32_e32 v10, 32, v10
	v_min_u32_e32 v11, v9, v10
	v_lshlrev_b64 v[9:10], v11, v[0:1]
	v_min_u32_e32 v9, 1, v9
	v_or_b32_e32 v9, v10, v9
	v_cvt_f32_i32_e32 v9, v9
	v_sub_u32_e32 v10, 32, v11
	v_ldexp_f32 v9, v9, v10
	v_cvt_f16_f32_e32 v9, v9
	v_mov_b32_e32 v10, s28
	v_fma_f16 v9, -s27, v9, v10
.LBB19_16:                              ;   in Loop: Header=BB19_14 Depth=1
	s_andn2_saveexec_b64 s[0:1], s[0:1]
	s_cbranch_execz .LBB19_13
; %bb.17:                               ;   in Loop: Header=BB19_14 Depth=1
	v_ffbh_u32_e32 v9, v3
	v_min_u32_e32 v11, 32, v9
	v_lshlrev_b64 v[9:10], v11, v[2:3]
	v_min_u32_e32 v9, 1, v9
	v_or_b32_e32 v9, v10, v9
	v_cvt_f32_u32_e32 v9, v9
	v_sub_u32_e32 v10, 32, v11
	v_ldexp_f32 v9, v9, v10
	v_cvt_f16_f32_e32 v9, v9
	v_mov_b32_e32 v10, s26
	v_fma_f16 v9, s27, v9, v10
	s_branch .LBB19_13
.LBB19_18:
	s_endpgm
	.section	.rodata,"a",@progbits
	.p2align	6, 0x0
	.amdhsa_kernel _ZN12_GLOBAL__N_141elementwise_kernel_with_index_grid_strideIlZZZN2at6native17linspace_cuda_outERKN3c106ScalarES6_lRNS1_6TensorEENKUlvE0_clEvENKUlvE3_clEvEUllE_EEvT_T0_PN15function_traitsISD_E11result_typeE
		.amdhsa_group_segment_fixed_size 0
		.amdhsa_private_segment_fixed_size 0
		.amdhsa_kernarg_size 304
		.amdhsa_user_sgpr_count 6
		.amdhsa_user_sgpr_private_segment_buffer 1
		.amdhsa_user_sgpr_dispatch_ptr 0
		.amdhsa_user_sgpr_queue_ptr 0
		.amdhsa_user_sgpr_kernarg_segment_ptr 1
		.amdhsa_user_sgpr_dispatch_id 0
		.amdhsa_user_sgpr_flat_scratch_init 0
		.amdhsa_user_sgpr_private_segment_size 0
		.amdhsa_uses_dynamic_stack 0
		.amdhsa_system_sgpr_private_segment_wavefront_offset 0
		.amdhsa_system_sgpr_workgroup_id_x 1
		.amdhsa_system_sgpr_workgroup_id_y 0
		.amdhsa_system_sgpr_workgroup_id_z 0
		.amdhsa_system_sgpr_workgroup_info 0
		.amdhsa_system_vgpr_workitem_id 0
		.amdhsa_next_free_vgpr 28
		.amdhsa_next_free_sgpr 32
		.amdhsa_reserve_vcc 1
		.amdhsa_reserve_flat_scratch 0
		.amdhsa_float_round_mode_32 0
		.amdhsa_float_round_mode_16_64 0
		.amdhsa_float_denorm_mode_32 3
		.amdhsa_float_denorm_mode_16_64 3
		.amdhsa_dx10_clamp 1
		.amdhsa_ieee_mode 1
		.amdhsa_fp16_overflow 0
		.amdhsa_exception_fp_ieee_invalid_op 0
		.amdhsa_exception_fp_denorm_src 0
		.amdhsa_exception_fp_ieee_div_zero 0
		.amdhsa_exception_fp_ieee_overflow 0
		.amdhsa_exception_fp_ieee_underflow 0
		.amdhsa_exception_fp_ieee_inexact 0
		.amdhsa_exception_int_div_zero 0
	.end_amdhsa_kernel
	.section	.text._ZN12_GLOBAL__N_141elementwise_kernel_with_index_grid_strideIlZZZN2at6native17linspace_cuda_outERKN3c106ScalarES6_lRNS1_6TensorEENKUlvE0_clEvENKUlvE3_clEvEUllE_EEvT_T0_PN15function_traitsISD_E11result_typeE,"axG",@progbits,_ZN12_GLOBAL__N_141elementwise_kernel_with_index_grid_strideIlZZZN2at6native17linspace_cuda_outERKN3c106ScalarES6_lRNS1_6TensorEENKUlvE0_clEvENKUlvE3_clEvEUllE_EEvT_T0_PN15function_traitsISD_E11result_typeE,comdat
.Lfunc_end19:
	.size	_ZN12_GLOBAL__N_141elementwise_kernel_with_index_grid_strideIlZZZN2at6native17linspace_cuda_outERKN3c106ScalarES6_lRNS1_6TensorEENKUlvE0_clEvENKUlvE3_clEvEUllE_EEvT_T0_PN15function_traitsISD_E11result_typeE, .Lfunc_end19-_ZN12_GLOBAL__N_141elementwise_kernel_with_index_grid_strideIlZZZN2at6native17linspace_cuda_outERKN3c106ScalarES6_lRNS1_6TensorEENKUlvE0_clEvENKUlvE3_clEvEUllE_EEvT_T0_PN15function_traitsISD_E11result_typeE
                                        ; -- End function
	.set _ZN12_GLOBAL__N_141elementwise_kernel_with_index_grid_strideIlZZZN2at6native17linspace_cuda_outERKN3c106ScalarES6_lRNS1_6TensorEENKUlvE0_clEvENKUlvE3_clEvEUllE_EEvT_T0_PN15function_traitsISD_E11result_typeE.num_vgpr, 28
	.set _ZN12_GLOBAL__N_141elementwise_kernel_with_index_grid_strideIlZZZN2at6native17linspace_cuda_outERKN3c106ScalarES6_lRNS1_6TensorEENKUlvE0_clEvENKUlvE3_clEvEUllE_EEvT_T0_PN15function_traitsISD_E11result_typeE.num_agpr, 0
	.set _ZN12_GLOBAL__N_141elementwise_kernel_with_index_grid_strideIlZZZN2at6native17linspace_cuda_outERKN3c106ScalarES6_lRNS1_6TensorEENKUlvE0_clEvENKUlvE3_clEvEUllE_EEvT_T0_PN15function_traitsISD_E11result_typeE.numbered_sgpr, 32
	.set _ZN12_GLOBAL__N_141elementwise_kernel_with_index_grid_strideIlZZZN2at6native17linspace_cuda_outERKN3c106ScalarES6_lRNS1_6TensorEENKUlvE0_clEvENKUlvE3_clEvEUllE_EEvT_T0_PN15function_traitsISD_E11result_typeE.num_named_barrier, 0
	.set _ZN12_GLOBAL__N_141elementwise_kernel_with_index_grid_strideIlZZZN2at6native17linspace_cuda_outERKN3c106ScalarES6_lRNS1_6TensorEENKUlvE0_clEvENKUlvE3_clEvEUllE_EEvT_T0_PN15function_traitsISD_E11result_typeE.private_seg_size, 0
	.set _ZN12_GLOBAL__N_141elementwise_kernel_with_index_grid_strideIlZZZN2at6native17linspace_cuda_outERKN3c106ScalarES6_lRNS1_6TensorEENKUlvE0_clEvENKUlvE3_clEvEUllE_EEvT_T0_PN15function_traitsISD_E11result_typeE.uses_vcc, 1
	.set _ZN12_GLOBAL__N_141elementwise_kernel_with_index_grid_strideIlZZZN2at6native17linspace_cuda_outERKN3c106ScalarES6_lRNS1_6TensorEENKUlvE0_clEvENKUlvE3_clEvEUllE_EEvT_T0_PN15function_traitsISD_E11result_typeE.uses_flat_scratch, 0
	.set _ZN12_GLOBAL__N_141elementwise_kernel_with_index_grid_strideIlZZZN2at6native17linspace_cuda_outERKN3c106ScalarES6_lRNS1_6TensorEENKUlvE0_clEvENKUlvE3_clEvEUllE_EEvT_T0_PN15function_traitsISD_E11result_typeE.has_dyn_sized_stack, 0
	.set _ZN12_GLOBAL__N_141elementwise_kernel_with_index_grid_strideIlZZZN2at6native17linspace_cuda_outERKN3c106ScalarES6_lRNS1_6TensorEENKUlvE0_clEvENKUlvE3_clEvEUllE_EEvT_T0_PN15function_traitsISD_E11result_typeE.has_recursion, 0
	.set _ZN12_GLOBAL__N_141elementwise_kernel_with_index_grid_strideIlZZZN2at6native17linspace_cuda_outERKN3c106ScalarES6_lRNS1_6TensorEENKUlvE0_clEvENKUlvE3_clEvEUllE_EEvT_T0_PN15function_traitsISD_E11result_typeE.has_indirect_call, 0
	.section	.AMDGPU.csdata,"",@progbits
; Kernel info:
; codeLenInByte = 1844
; TotalNumSgprs: 36
; NumVgprs: 28
; ScratchSize: 0
; MemoryBound: 0
; FloatMode: 240
; IeeeMode: 1
; LDSByteSize: 0 bytes/workgroup (compile time only)
; SGPRBlocks: 4
; VGPRBlocks: 6
; NumSGPRsForWavesPerEU: 36
; NumVGPRsForWavesPerEU: 28
; Occupancy: 9
; WaveLimiterHint : 0
; COMPUTE_PGM_RSRC2:SCRATCH_EN: 0
; COMPUTE_PGM_RSRC2:USER_SGPR: 6
; COMPUTE_PGM_RSRC2:TRAP_HANDLER: 0
; COMPUTE_PGM_RSRC2:TGID_X_EN: 1
; COMPUTE_PGM_RSRC2:TGID_Y_EN: 0
; COMPUTE_PGM_RSRC2:TGID_Z_EN: 0
; COMPUTE_PGM_RSRC2:TIDIG_COMP_CNT: 0
	.section	.text._ZN12_GLOBAL__N_141elementwise_kernel_with_index_grid_strideIiZZZN2at6native17linspace_cuda_outERKN3c106ScalarES6_lRNS1_6TensorEENKUlvE0_clEvENKUlvE4_clEvEUllE_EEvT_T0_PN15function_traitsISD_E11result_typeE,"axG",@progbits,_ZN12_GLOBAL__N_141elementwise_kernel_with_index_grid_strideIiZZZN2at6native17linspace_cuda_outERKN3c106ScalarES6_lRNS1_6TensorEENKUlvE0_clEvENKUlvE4_clEvEUllE_EEvT_T0_PN15function_traitsISD_E11result_typeE,comdat
	.globl	_ZN12_GLOBAL__N_141elementwise_kernel_with_index_grid_strideIiZZZN2at6native17linspace_cuda_outERKN3c106ScalarES6_lRNS1_6TensorEENKUlvE0_clEvENKUlvE4_clEvEUllE_EEvT_T0_PN15function_traitsISD_E11result_typeE ; -- Begin function _ZN12_GLOBAL__N_141elementwise_kernel_with_index_grid_strideIiZZZN2at6native17linspace_cuda_outERKN3c106ScalarES6_lRNS1_6TensorEENKUlvE0_clEvENKUlvE4_clEvEUllE_EEvT_T0_PN15function_traitsISD_E11result_typeE
	.p2align	8
	.type	_ZN12_GLOBAL__N_141elementwise_kernel_with_index_grid_strideIiZZZN2at6native17linspace_cuda_outERKN3c106ScalarES6_lRNS1_6TensorEENKUlvE0_clEvENKUlvE4_clEvEUllE_EEvT_T0_PN15function_traitsISD_E11result_typeE,@function
_ZN12_GLOBAL__N_141elementwise_kernel_with_index_grid_strideIiZZZN2at6native17linspace_cuda_outERKN3c106ScalarES6_lRNS1_6TensorEENKUlvE0_clEvENKUlvE4_clEvEUllE_EEvT_T0_PN15function_traitsISD_E11result_typeE: ; @_ZN12_GLOBAL__N_141elementwise_kernel_with_index_grid_strideIiZZZN2at6native17linspace_cuda_outERKN3c106ScalarES6_lRNS1_6TensorEENKUlvE0_clEvENKUlvE4_clEvEUllE_EEvT_T0_PN15function_traitsISD_E11result_typeE
; %bb.0:
	s_load_dword s2, s[4:5], 0x3c
	s_load_dword s20, s[4:5], 0x0
	s_add_u32 s0, s4, 48
	s_addc_u32 s1, s5, 0
	s_waitcnt lgkmcnt(0)
	s_and_b32 s2, s2, 0xffff
	s_mul_i32 s3, s6, s2
	v_add_u32_e32 v1, s3, v0
	v_cmp_gt_i32_e32 vcc, s20, v1
	s_and_saveexec_b64 s[8:9], vcc
	s_cbranch_execz .LBB20_12
; %bb.1:
	s_load_dword s0, s[0:1], 0x0
	s_waitcnt lgkmcnt(0)
	s_mul_i32 s12, s0, s2
	v_cvt_f32_u32_e32 v2, s12
	s_sub_i32 s1, 0, s12
	s_add_i32 s0, s6, s0
	s_mul_i32 s0, s0, s2
	v_rcp_iflag_f32_e32 v2, v2
	v_add_u32_e32 v4, s0, v0
	v_mov_b32_e32 v5, s0
	v_cmp_gt_i32_e32 vcc, s20, v4
	v_mul_f32_e32 v2, 0x4f7ffffe, v2
	v_cvt_u32_f32_e32 v2, v2
	v_max_i32_e32 v6, s20, v4
	s_load_dword s3, s[4:5], 0x18
	v_mul_lo_u32 v3, s1, v2
	v_addc_co_u32_e64 v0, s[0:1], v0, v5, vcc
	v_sub_u32_e32 v0, v6, v0
	v_mul_hi_u32 v3, v2, v3
	s_load_dword s0, s[4:5], 0x8
	s_load_dwordx2 s[6:7], s[4:5], 0x10
	s_load_dwordx4 s[8:11], s[4:5], 0x20
	s_waitcnt lgkmcnt(0)
	s_lshl_b32 s21, s3, 16
	s_pack_lh_b32_b16 s22, 0, s0
	v_add_u32_e32 v2, v2, v3
	v_mul_hi_u32 v2, v0, v2
	s_lshl_b32 s23, s0, 16
	v_mul_lo_u32 v3, v2, s12
	v_add_u32_e32 v4, 1, v2
	v_sub_u32_e32 v0, v0, v3
	v_cmp_le_u32_e64 s[0:1], s12, v0
	v_subrev_u32_e32 v3, s12, v0
	v_cndmask_b32_e64 v2, v2, v4, s[0:1]
	v_cndmask_b32_e64 v0, v0, v3, s[0:1]
	v_add_u32_e32 v3, 1, v2
	v_cmp_le_u32_e64 s[0:1], s12, v0
	v_cndmask_b32_e64 v0, v2, v3, s[0:1]
	v_addc_co_u32_e32 v0, vcc, 1, v0, vcc
	v_cmp_lt_u32_e32 vcc, 1, v0
	s_mov_b64 s[0:1], -1
	s_and_saveexec_b64 s[4:5], vcc
	s_cbranch_execz .LBB20_5
; %bb.2:
	v_add_u32_e32 v2, s12, v1
	v_and_b32_e32 v4, -2, v0
	s_lshl_b32 s27, s12, 1
	v_mov_b32_e32 v3, v2
	s_mov_b32 s13, s21
	s_mov_b32 s24, s22
	;; [unrolled: 1-line block ×9, first 2 shown]
	s_mov_b64 s[18:19], 0
	v_mov_b32_e32 v5, s7
	v_mov_b32_e32 v6, s7
	s_movk_i32 s29, 0x7fff
	v_mov_b32_e32 v7, 0x7fc00000
	v_mov_b32_e32 v8, 0x7fc0
	;; [unrolled: 1-line block ×6, first 2 shown]
.LBB20_3:                               ; =>This Inner Loop Header: Depth=1
	v_xor_b32_e32 v16, -1, v3
	v_ashrrev_i32_e32 v17, 31, v16
	v_add_co_u32_e64 v16, s[2:3], s26, v16
	v_xor_b32_e32 v18, -1, v2
	v_addc_co_u32_e64 v17, s[2:3], v5, v17, s[2:3]
	v_ashrrev_i32_e32 v19, 31, v18
	v_add_co_u32_e64 v18, s[2:3], s6, v18
	v_addc_co_u32_e64 v19, s[2:3], v6, v19, s[2:3]
	v_xor_b32_e32 v20, v18, v19
	v_ashrrev_i32_e32 v20, 31, v20
	v_ffbh_i32_e32 v21, v19
	v_add_u32_e32 v20, 32, v20
	v_add_u32_e32 v21, -1, v21
	v_min_u32_e32 v20, v21, v20
	v_lshlrev_b64 v[18:19], v20, v[18:19]
	v_ashrrev_i32_e32 v15, 31, v3
	v_min_u32_e32 v18, 1, v18
	v_or_b32_e32 v18, v19, v18
	v_cvt_f32_i32_e32 v18, v18
	v_sub_u32_e32 v19, 32, v20
	v_ffbh_i32_e32 v20, v17
	v_add_u32_e32 v20, -1, v20
	v_ldexp_f32 v18, v18, v19
	v_xor_b32_e32 v19, v16, v17
	v_ashrrev_i32_e32 v19, 31, v19
	v_add_u32_e32 v19, 32, v19
	v_min_u32_e32 v19, v20, v19
	v_lshlrev_b64 v[16:17], v19, v[16:17]
	v_mov_b32_e32 v14, v3
	v_min_u32_e32 v16, 1, v16
	v_or_b32_e32 v16, v17, v16
	v_cvt_f32_i32_e32 v16, v16
	v_sub_u32_e32 v17, 32, v19
	v_and_b32_sdwa v19, v18, v10 dst_sel:DWORD dst_unused:UNUSED_PAD src0_sel:WORD_1 src1_sel:DWORD
	v_ashrrev_i32_e32 v13, 31, v2
	v_ldexp_f32 v16, v16, v17
	v_and_b32_sdwa v17, v16, v10 dst_sel:DWORD dst_unused:UNUSED_PAD src0_sel:WORD_1 src1_sel:DWORD
	v_add3_u32 v16, v16, v17, s29
	v_add3_u32 v17, v18, v19, s29
	v_and_b32_e32 v17, 0xffff0000, v17
	v_and_b32_e32 v16, 0xffff0000, v16
	v_mul_f32_e32 v17, s21, v17
	v_mul_f32_e32 v16, s13, v16
	v_and_b32_sdwa v19, v17, v10 dst_sel:DWORD dst_unused:UNUSED_PAD src0_sel:WORD_1 src1_sel:DWORD
	v_and_b32_sdwa v18, v16, v10 dst_sel:DWORD dst_unused:UNUSED_PAD src0_sel:WORD_1 src1_sel:DWORD
	v_add3_u32 v19, v17, v19, s29
	v_add3_u32 v18, v16, v18, s29
	v_and_b32_e32 v19, 0xffff0000, v19
	v_cmp_o_f32_e64 s[2:3], v17, v17
	v_and_b32_e32 v18, 0xffff0000, v18
	v_cndmask_b32_e64 v17, v7, v19, s[2:3]
	v_cmp_o_f32_e64 s[2:3], v16, v16
	v_cndmask_b32_e64 v16, v7, v18, s[2:3]
	v_cvt_f32_i32_e32 v18, v2
	v_cvt_f32_i32_e32 v19, v3
	v_mov_b32_e32 v12, v2
	v_cmp_gt_i64_e32 vcc, s[16:17], v[14:15]
	v_and_b32_sdwa v21, v18, v10 dst_sel:DWORD dst_unused:UNUSED_PAD src0_sel:WORD_1 src1_sel:DWORD
	v_and_b32_sdwa v20, v19, v10 dst_sel:DWORD dst_unused:UNUSED_PAD src0_sel:WORD_1 src1_sel:DWORD
	v_add3_u32 v18, v18, v21, s29
	v_add3_u32 v19, v19, v20, s29
	v_and_b32_e32 v18, 0xffff0000, v18
	v_and_b32_e32 v19, 0xffff0000, v19
	v_mul_f32_e32 v18, s21, v18
	v_mul_f32_e32 v19, s13, v19
	v_and_b32_sdwa v21, v18, v10 dst_sel:DWORD dst_unused:UNUSED_PAD src0_sel:WORD_1 src1_sel:DWORD
	v_and_b32_sdwa v20, v19, v10 dst_sel:DWORD dst_unused:UNUSED_PAD src0_sel:WORD_1 src1_sel:DWORD
	v_add3_u32 v21, v18, v21, s29
	v_add3_u32 v20, v19, v20, s29
	v_and_b32_e32 v21, 0xffff0000, v21
	v_cmp_o_f32_e64 s[2:3], v18, v18
	v_and_b32_e32 v20, 0xffff0000, v20
	v_cndmask_b32_e64 v18, v7, v21, s[2:3]
	v_cmp_o_f32_e64 s[2:3], v19, v19
	v_cndmask_b32_e64 v19, v7, v20, s[2:3]
	v_cmp_gt_i64_e64 s[0:1], s[14:15], v[12:13]
	v_sub_f32_e32 v16, s24, v16
	v_add_f32_e32 v19, s25, v19
	v_sub_f32_e32 v17, s22, v17
	v_add_f32_e32 v18, s23, v18
	v_cndmask_b32_e32 v16, v16, v19, vcc
	v_cndmask_b32_e64 v17, v17, v18, s[0:1]
	v_and_b32_sdwa v18, v16, v10 dst_sel:DWORD dst_unused:UNUSED_PAD src0_sel:WORD_1 src1_sel:DWORD
	v_and_b32_sdwa v19, v17, v10 dst_sel:DWORD dst_unused:UNUSED_PAD src0_sel:WORD_1 src1_sel:DWORD
	v_add3_u32 v18, v16, v18, s29
	v_add3_u32 v19, v17, v19, s29
	v_lshrrev_b32_e32 v18, 16, v18
	v_cmp_o_f32_e32 vcc, v16, v16
	v_lshlrev_b64 v[12:13], 1, v[12:13]
	v_lshrrev_b32_e32 v19, 16, v19
	v_cndmask_b32_e32 v16, v8, v18, vcc
	v_cmp_o_f32_e32 vcc, v17, v17
	v_cndmask_b32_e32 v17, v8, v19, vcc
	v_add_co_u32_e32 v12, vcc, s10, v12
	v_lshlrev_b64 v[14:15], 1, v[14:15]
	v_addc_co_u32_e32 v13, vcc, v9, v13, vcc
	v_add_co_u32_e32 v14, vcc, s10, v14
	v_addc_co_u32_e32 v15, vcc, v9, v15, vcc
	v_add_u32_e32 v11, -2, v11
	v_cmp_eq_u32_e32 vcc, 0, v11
	v_add_u32_e32 v3, s28, v3
	v_add_u32_e32 v2, s27, v2
	s_or_b64 s[18:19], vcc, s[18:19]
	global_store_short v[12:13], v17, off
	global_store_short v[14:15], v16, off
	s_andn2_b64 exec, exec, s[18:19]
	s_cbranch_execnz .LBB20_3
; %bb.4:
	s_or_b64 exec, exec, s[18:19]
	v_mad_u64_u32 v[1:2], s[0:1], v4, s12, v[1:2]
	v_cmp_ne_u32_e32 vcc, v0, v4
	s_orn2_b64 s[0:1], vcc, exec
.LBB20_5:
	s_or_b64 exec, exec, s[4:5]
	s_and_b64 exec, exec, s[0:1]
	s_cbranch_execz .LBB20_12
; %bb.6:
	v_ashrrev_i32_e32 v2, 31, v1
	v_not_b32_e32 v3, v1
	v_not_b32_e32 v0, v2
	v_mov_b32_e32 v4, s7
	v_add_co_u32_e32 v3, vcc, s6, v3
	v_lshlrev_b64 v[5:6], 1, v[1:2]
	v_addc_co_u32_e32 v4, vcc, v0, v4, vcc
	s_ashr_i32 s13, s12, 31
	v_mov_b32_e32 v0, s11
	v_add_co_u32_e32 v5, vcc, s10, v5
	v_addc_co_u32_e32 v6, vcc, v0, v6, vcc
	s_lshl_b64 s[0:1], s[12:13], 1
	s_mov_b64 s[2:3], 0
	s_movk_i32 s6, 0x7fff
	v_mov_b32_e32 v0, 0x7fc00000
	v_mov_b32_e32 v7, 0x7fc0
	s_branch .LBB20_8
.LBB20_7:                               ;   in Loop: Header=BB20_8 Depth=1
	s_or_b64 exec, exec, s[4:5]
	v_bfe_u32 v9, v8, 16, 1
	v_add3_u32 v9, v8, v9, s6
	v_cmp_o_f32_e32 vcc, v8, v8
	v_cndmask_b32_sdwa v8, v7, v9, vcc dst_sel:DWORD dst_unused:UNUSED_PAD src0_sel:DWORD src1_sel:WORD_1
	global_store_short v[5:6], v8, off
	v_mov_b32_e32 v8, s13
	v_add_co_u32_e32 v1, vcc, s12, v1
	v_addc_co_u32_e32 v2, vcc, v2, v8, vcc
	v_subrev_co_u32_e32 v3, vcc, s12, v3
	v_subb_co_u32_e32 v4, vcc, v4, v8, vcc
	v_cmp_le_i32_e32 vcc, s20, v1
	v_mov_b32_e32 v8, s1
	s_or_b64 s[2:3], vcc, s[2:3]
	v_add_co_u32_e32 v5, vcc, s0, v5
	v_addc_co_u32_e32 v6, vcc, v6, v8, vcc
	s_andn2_b64 exec, exec, s[2:3]
	s_cbranch_execz .LBB20_12
.LBB20_8:                               ; =>This Inner Loop Header: Depth=1
	v_cmp_le_i64_e32 vcc, s[8:9], v[1:2]
                                        ; implicit-def: $vgpr8
	s_and_saveexec_b64 s[4:5], vcc
	s_xor_b64 s[4:5], exec, s[4:5]
	s_cbranch_execz .LBB20_10
; %bb.9:                                ;   in Loop: Header=BB20_8 Depth=1
	v_xor_b32_e32 v9, v3, v4
	v_ffbh_i32_e32 v8, v4
	v_ashrrev_i32_e32 v9, 31, v9
	v_add_u32_e32 v8, -1, v8
	v_add_u32_e32 v9, 32, v9
	v_min_u32_e32 v10, v8, v9
	v_lshlrev_b64 v[8:9], v10, v[3:4]
	v_min_u32_e32 v8, 1, v8
	v_or_b32_e32 v8, v9, v8
	v_cvt_f32_i32_e32 v8, v8
	v_sub_u32_e32 v9, 32, v10
	v_ldexp_f32 v8, v8, v9
	v_bfe_u32 v9, v8, 16, 1
	v_add3_u32 v8, v8, v9, s6
	v_and_b32_e32 v8, 0xffff0000, v8
	v_mul_f32_e32 v8, s21, v8
	v_bfe_u32 v9, v8, 16, 1
	v_add3_u32 v9, v8, v9, s6
	v_and_b32_e32 v9, 0xffff0000, v9
	v_cmp_o_f32_e32 vcc, v8, v8
	v_cndmask_b32_e32 v8, v0, v9, vcc
	v_sub_f32_e32 v8, s22, v8
.LBB20_10:                              ;   in Loop: Header=BB20_8 Depth=1
	s_andn2_saveexec_b64 s[4:5], s[4:5]
	s_cbranch_execz .LBB20_7
; %bb.11:                               ;   in Loop: Header=BB20_8 Depth=1
	v_cvt_f32_i32_e32 v8, v1
	v_bfe_u32 v9, v8, 16, 1
	v_add3_u32 v8, v8, v9, s6
	v_and_b32_e32 v8, 0xffff0000, v8
	v_mul_f32_e32 v8, s21, v8
	v_bfe_u32 v9, v8, 16, 1
	v_add3_u32 v9, v8, v9, s6
	v_and_b32_e32 v9, 0xffff0000, v9
	v_cmp_o_f32_e32 vcc, v8, v8
	v_cndmask_b32_e32 v8, v0, v9, vcc
	v_add_f32_e32 v8, s23, v8
	s_branch .LBB20_7
.LBB20_12:
	s_endpgm
	.section	.rodata,"a",@progbits
	.p2align	6, 0x0
	.amdhsa_kernel _ZN12_GLOBAL__N_141elementwise_kernel_with_index_grid_strideIiZZZN2at6native17linspace_cuda_outERKN3c106ScalarES6_lRNS1_6TensorEENKUlvE0_clEvENKUlvE4_clEvEUllE_EEvT_T0_PN15function_traitsISD_E11result_typeE
		.amdhsa_group_segment_fixed_size 0
		.amdhsa_private_segment_fixed_size 0
		.amdhsa_kernarg_size 304
		.amdhsa_user_sgpr_count 6
		.amdhsa_user_sgpr_private_segment_buffer 1
		.amdhsa_user_sgpr_dispatch_ptr 0
		.amdhsa_user_sgpr_queue_ptr 0
		.amdhsa_user_sgpr_kernarg_segment_ptr 1
		.amdhsa_user_sgpr_dispatch_id 0
		.amdhsa_user_sgpr_flat_scratch_init 0
		.amdhsa_user_sgpr_private_segment_size 0
		.amdhsa_uses_dynamic_stack 0
		.amdhsa_system_sgpr_private_segment_wavefront_offset 0
		.amdhsa_system_sgpr_workgroup_id_x 1
		.amdhsa_system_sgpr_workgroup_id_y 0
		.amdhsa_system_sgpr_workgroup_id_z 0
		.amdhsa_system_sgpr_workgroup_info 0
		.amdhsa_system_vgpr_workitem_id 0
		.amdhsa_next_free_vgpr 22
		.amdhsa_next_free_sgpr 30
		.amdhsa_reserve_vcc 1
		.amdhsa_reserve_flat_scratch 0
		.amdhsa_float_round_mode_32 0
		.amdhsa_float_round_mode_16_64 0
		.amdhsa_float_denorm_mode_32 3
		.amdhsa_float_denorm_mode_16_64 3
		.amdhsa_dx10_clamp 1
		.amdhsa_ieee_mode 1
		.amdhsa_fp16_overflow 0
		.amdhsa_exception_fp_ieee_invalid_op 0
		.amdhsa_exception_fp_denorm_src 0
		.amdhsa_exception_fp_ieee_div_zero 0
		.amdhsa_exception_fp_ieee_overflow 0
		.amdhsa_exception_fp_ieee_underflow 0
		.amdhsa_exception_fp_ieee_inexact 0
		.amdhsa_exception_int_div_zero 0
	.end_amdhsa_kernel
	.section	.text._ZN12_GLOBAL__N_141elementwise_kernel_with_index_grid_strideIiZZZN2at6native17linspace_cuda_outERKN3c106ScalarES6_lRNS1_6TensorEENKUlvE0_clEvENKUlvE4_clEvEUllE_EEvT_T0_PN15function_traitsISD_E11result_typeE,"axG",@progbits,_ZN12_GLOBAL__N_141elementwise_kernel_with_index_grid_strideIiZZZN2at6native17linspace_cuda_outERKN3c106ScalarES6_lRNS1_6TensorEENKUlvE0_clEvENKUlvE4_clEvEUllE_EEvT_T0_PN15function_traitsISD_E11result_typeE,comdat
.Lfunc_end20:
	.size	_ZN12_GLOBAL__N_141elementwise_kernel_with_index_grid_strideIiZZZN2at6native17linspace_cuda_outERKN3c106ScalarES6_lRNS1_6TensorEENKUlvE0_clEvENKUlvE4_clEvEUllE_EEvT_T0_PN15function_traitsISD_E11result_typeE, .Lfunc_end20-_ZN12_GLOBAL__N_141elementwise_kernel_with_index_grid_strideIiZZZN2at6native17linspace_cuda_outERKN3c106ScalarES6_lRNS1_6TensorEENKUlvE0_clEvENKUlvE4_clEvEUllE_EEvT_T0_PN15function_traitsISD_E11result_typeE
                                        ; -- End function
	.set _ZN12_GLOBAL__N_141elementwise_kernel_with_index_grid_strideIiZZZN2at6native17linspace_cuda_outERKN3c106ScalarES6_lRNS1_6TensorEENKUlvE0_clEvENKUlvE4_clEvEUllE_EEvT_T0_PN15function_traitsISD_E11result_typeE.num_vgpr, 22
	.set _ZN12_GLOBAL__N_141elementwise_kernel_with_index_grid_strideIiZZZN2at6native17linspace_cuda_outERKN3c106ScalarES6_lRNS1_6TensorEENKUlvE0_clEvENKUlvE4_clEvEUllE_EEvT_T0_PN15function_traitsISD_E11result_typeE.num_agpr, 0
	.set _ZN12_GLOBAL__N_141elementwise_kernel_with_index_grid_strideIiZZZN2at6native17linspace_cuda_outERKN3c106ScalarES6_lRNS1_6TensorEENKUlvE0_clEvENKUlvE4_clEvEUllE_EEvT_T0_PN15function_traitsISD_E11result_typeE.numbered_sgpr, 30
	.set _ZN12_GLOBAL__N_141elementwise_kernel_with_index_grid_strideIiZZZN2at6native17linspace_cuda_outERKN3c106ScalarES6_lRNS1_6TensorEENKUlvE0_clEvENKUlvE4_clEvEUllE_EEvT_T0_PN15function_traitsISD_E11result_typeE.num_named_barrier, 0
	.set _ZN12_GLOBAL__N_141elementwise_kernel_with_index_grid_strideIiZZZN2at6native17linspace_cuda_outERKN3c106ScalarES6_lRNS1_6TensorEENKUlvE0_clEvENKUlvE4_clEvEUllE_EEvT_T0_PN15function_traitsISD_E11result_typeE.private_seg_size, 0
	.set _ZN12_GLOBAL__N_141elementwise_kernel_with_index_grid_strideIiZZZN2at6native17linspace_cuda_outERKN3c106ScalarES6_lRNS1_6TensorEENKUlvE0_clEvENKUlvE4_clEvEUllE_EEvT_T0_PN15function_traitsISD_E11result_typeE.uses_vcc, 1
	.set _ZN12_GLOBAL__N_141elementwise_kernel_with_index_grid_strideIiZZZN2at6native17linspace_cuda_outERKN3c106ScalarES6_lRNS1_6TensorEENKUlvE0_clEvENKUlvE4_clEvEUllE_EEvT_T0_PN15function_traitsISD_E11result_typeE.uses_flat_scratch, 0
	.set _ZN12_GLOBAL__N_141elementwise_kernel_with_index_grid_strideIiZZZN2at6native17linspace_cuda_outERKN3c106ScalarES6_lRNS1_6TensorEENKUlvE0_clEvENKUlvE4_clEvEUllE_EEvT_T0_PN15function_traitsISD_E11result_typeE.has_dyn_sized_stack, 0
	.set _ZN12_GLOBAL__N_141elementwise_kernel_with_index_grid_strideIiZZZN2at6native17linspace_cuda_outERKN3c106ScalarES6_lRNS1_6TensorEENKUlvE0_clEvENKUlvE4_clEvEUllE_EEvT_T0_PN15function_traitsISD_E11result_typeE.has_recursion, 0
	.set _ZN12_GLOBAL__N_141elementwise_kernel_with_index_grid_strideIiZZZN2at6native17linspace_cuda_outERKN3c106ScalarES6_lRNS1_6TensorEENKUlvE0_clEvENKUlvE4_clEvEUllE_EEvT_T0_PN15function_traitsISD_E11result_typeE.has_indirect_call, 0
	.section	.AMDGPU.csdata,"",@progbits
; Kernel info:
; codeLenInByte = 1440
; TotalNumSgprs: 34
; NumVgprs: 22
; ScratchSize: 0
; MemoryBound: 0
; FloatMode: 240
; IeeeMode: 1
; LDSByteSize: 0 bytes/workgroup (compile time only)
; SGPRBlocks: 4
; VGPRBlocks: 5
; NumSGPRsForWavesPerEU: 34
; NumVGPRsForWavesPerEU: 22
; Occupancy: 10
; WaveLimiterHint : 0
; COMPUTE_PGM_RSRC2:SCRATCH_EN: 0
; COMPUTE_PGM_RSRC2:USER_SGPR: 6
; COMPUTE_PGM_RSRC2:TRAP_HANDLER: 0
; COMPUTE_PGM_RSRC2:TGID_X_EN: 1
; COMPUTE_PGM_RSRC2:TGID_Y_EN: 0
; COMPUTE_PGM_RSRC2:TGID_Z_EN: 0
; COMPUTE_PGM_RSRC2:TIDIG_COMP_CNT: 0
	.section	.text._ZN12_GLOBAL__N_141elementwise_kernel_with_index_grid_strideIlZZZN2at6native17linspace_cuda_outERKN3c106ScalarES6_lRNS1_6TensorEENKUlvE0_clEvENKUlvE4_clEvEUllE_EEvT_T0_PN15function_traitsISD_E11result_typeE,"axG",@progbits,_ZN12_GLOBAL__N_141elementwise_kernel_with_index_grid_strideIlZZZN2at6native17linspace_cuda_outERKN3c106ScalarES6_lRNS1_6TensorEENKUlvE0_clEvENKUlvE4_clEvEUllE_EEvT_T0_PN15function_traitsISD_E11result_typeE,comdat
	.globl	_ZN12_GLOBAL__N_141elementwise_kernel_with_index_grid_strideIlZZZN2at6native17linspace_cuda_outERKN3c106ScalarES6_lRNS1_6TensorEENKUlvE0_clEvENKUlvE4_clEvEUllE_EEvT_T0_PN15function_traitsISD_E11result_typeE ; -- Begin function _ZN12_GLOBAL__N_141elementwise_kernel_with_index_grid_strideIlZZZN2at6native17linspace_cuda_outERKN3c106ScalarES6_lRNS1_6TensorEENKUlvE0_clEvENKUlvE4_clEvEUllE_EEvT_T0_PN15function_traitsISD_E11result_typeE
	.p2align	8
	.type	_ZN12_GLOBAL__N_141elementwise_kernel_with_index_grid_strideIlZZZN2at6native17linspace_cuda_outERKN3c106ScalarES6_lRNS1_6TensorEENKUlvE0_clEvENKUlvE4_clEvEUllE_EEvT_T0_PN15function_traitsISD_E11result_typeE,@function
_ZN12_GLOBAL__N_141elementwise_kernel_with_index_grid_strideIlZZZN2at6native17linspace_cuda_outERKN3c106ScalarES6_lRNS1_6TensorEENKUlvE0_clEvENKUlvE4_clEvEUllE_EEvT_T0_PN15function_traitsISD_E11result_typeE: ; @_ZN12_GLOBAL__N_141elementwise_kernel_with_index_grid_strideIlZZZN2at6native17linspace_cuda_outERKN3c106ScalarES6_lRNS1_6TensorEENKUlvE0_clEvENKUlvE4_clEvEUllE_EEvT_T0_PN15function_traitsISD_E11result_typeE
; %bb.0:
	s_load_dword s2, s[4:5], 0x3c
	s_load_dwordx2 s[12:13], s[4:5], 0x0
	s_add_u32 s0, s4, 48
	s_addc_u32 s1, s5, 0
	v_mov_b32_e32 v1, 0
	s_waitcnt lgkmcnt(0)
	s_and_b32 s2, s2, 0xffff
	v_mov_b32_e32 v2, s6
	v_mad_u64_u32 v[2:3], s[8:9], s2, v2, v[0:1]
	v_cmp_gt_i64_e32 vcc, s[12:13], v[2:3]
	s_and_saveexec_b64 s[8:9], vcc
	s_cbranch_execz .LBB21_18
; %bb.1:
	s_load_dword s3, s[0:1], 0x0
	s_load_dword s16, s[4:5], 0x8
	v_mov_b32_e32 v4, s2
	v_mov_b32_e32 v7, s13
	s_waitcnt lgkmcnt(0)
	s_add_u32 s0, s6, s3
	v_mad_u64_u32 v[5:6], s[0:1], s0, v4, v[0:1]
	s_addc_u32 s0, 0, 0
	s_mul_i32 s0, s0, s2
	v_add_u32_e32 v6, s0, v6
	v_cmp_gt_i64_e32 vcc, s[12:13], v[5:6]
	v_mov_b32_e32 v4, s12
	v_cndmask_b32_e32 v0, v6, v7, vcc
	v_cndmask_b32_e32 v7, v5, v4, vcc
	v_cndmask_b32_e64 v4, 0, 1, vcc
	v_add_co_u32_e32 v5, vcc, v5, v4
	v_addc_co_u32_e32 v6, vcc, 0, v6, vcc
	v_sub_co_u32_e32 v5, vcc, v7, v5
	s_mul_hi_u32 s7, s2, s3
	v_subb_co_u32_e32 v6, vcc, v0, v6, vcc
	v_or_b32_e32 v8, s7, v6
	v_mov_b32_e32 v7, v1
	v_cmp_ne_u64_e32 vcc, 0, v[7:8]
	s_mul_i32 s6, s2, s3
                                        ; implicit-def: $vgpr0_vgpr1
	s_and_saveexec_b64 s[0:1], vcc
	s_xor_b64 s[2:3], exec, s[0:1]
	s_cbranch_execz .LBB21_3
; %bb.2:
	v_cvt_f32_u32_e32 v0, s6
	v_cvt_f32_u32_e32 v1, s7
	s_sub_u32 s8, 0, s6
	s_subb_u32 s9, 0, s7
	v_madmk_f32 v0, v1, 0x4f800000, v0
	v_rcp_f32_e32 v0, v0
	v_mul_f32_e32 v0, 0x5f7ffffc, v0
	v_mul_f32_e32 v1, 0x2f800000, v0
	v_trunc_f32_e32 v1, v1
	v_madmk_f32 v0, v1, 0xcf800000, v0
	v_cvt_u32_f32_e32 v1, v1
	v_cvt_u32_f32_e32 v0, v0
	v_readfirstlane_b32 s10, v1
	v_readfirstlane_b32 s0, v0
	s_mul_i32 s1, s8, s10
	s_mul_hi_u32 s14, s8, s0
	s_mul_i32 s11, s9, s0
	s_add_i32 s1, s14, s1
	s_mul_i32 s15, s8, s0
	s_add_i32 s1, s1, s11
	s_mul_i32 s14, s0, s1
	s_mul_hi_u32 s17, s0, s15
	s_mul_hi_u32 s11, s0, s1
	s_add_u32 s14, s17, s14
	s_addc_u32 s11, 0, s11
	s_mul_hi_u32 s18, s10, s15
	s_mul_i32 s15, s10, s15
	s_add_u32 s14, s14, s15
	s_mul_hi_u32 s17, s10, s1
	s_addc_u32 s11, s11, s18
	s_addc_u32 s14, s17, 0
	s_mul_i32 s1, s10, s1
	s_add_u32 s1, s11, s1
	s_addc_u32 s11, 0, s14
	s_add_u32 s14, s0, s1
	s_cselect_b64 s[0:1], -1, 0
	s_cmp_lg_u64 s[0:1], 0
	s_addc_u32 s10, s10, s11
	s_mul_i32 s0, s8, s10
	s_mul_hi_u32 s1, s8, s14
	s_add_i32 s0, s1, s0
	s_mul_i32 s9, s9, s14
	s_add_i32 s0, s0, s9
	s_mul_i32 s8, s8, s14
	s_mul_hi_u32 s9, s10, s8
	s_mul_i32 s11, s10, s8
	s_mul_i32 s17, s14, s0
	s_mul_hi_u32 s8, s14, s8
	s_mul_hi_u32 s15, s14, s0
	s_add_u32 s8, s8, s17
	s_addc_u32 s15, 0, s15
	s_add_u32 s8, s8, s11
	s_mul_hi_u32 s1, s10, s0
	s_addc_u32 s8, s15, s9
	s_addc_u32 s1, s1, 0
	s_mul_i32 s0, s10, s0
	s_add_u32 s0, s8, s0
	s_addc_u32 s8, 0, s1
	s_add_u32 s9, s14, s0
	s_cselect_b64 s[0:1], -1, 0
	s_cmp_lg_u64 s[0:1], 0
	s_addc_u32 s8, s10, s8
	v_mad_u64_u32 v[0:1], s[0:1], v5, s8, 0
	v_mul_hi_u32 v7, v5, s9
	v_add_co_u32_e32 v9, vcc, v7, v0
	v_addc_co_u32_e32 v10, vcc, 0, v1, vcc
	v_mad_u64_u32 v[0:1], s[0:1], v6, s9, 0
	v_mad_u64_u32 v[7:8], s[0:1], v6, s8, 0
	v_add_co_u32_e32 v0, vcc, v9, v0
	v_addc_co_u32_e32 v0, vcc, v10, v1, vcc
	v_addc_co_u32_e32 v1, vcc, 0, v8, vcc
	v_add_co_u32_e32 v7, vcc, v0, v7
	v_addc_co_u32_e32 v8, vcc, 0, v1, vcc
	v_mul_lo_u32 v9, s7, v7
	v_mul_lo_u32 v10, s6, v8
	v_mad_u64_u32 v[0:1], s[0:1], s6, v7, 0
	v_add3_u32 v1, v1, v10, v9
	v_sub_u32_e32 v9, v6, v1
	v_mov_b32_e32 v10, s7
	v_sub_co_u32_e32 v0, vcc, v5, v0
	v_subb_co_u32_e64 v5, s[0:1], v9, v10, vcc
	v_subrev_co_u32_e64 v9, s[0:1], s6, v0
	v_subbrev_co_u32_e64 v5, s[0:1], 0, v5, s[0:1]
	v_cmp_le_u32_e64 s[0:1], s7, v5
	v_cndmask_b32_e64 v10, 0, -1, s[0:1]
	v_cmp_le_u32_e64 s[0:1], s6, v9
	v_cndmask_b32_e64 v9, 0, -1, s[0:1]
	v_cmp_eq_u32_e64 s[0:1], s7, v5
	v_cndmask_b32_e64 v5, v10, v9, s[0:1]
	v_add_co_u32_e64 v9, s[0:1], 2, v7
	v_subb_co_u32_e32 v1, vcc, v6, v1, vcc
	v_addc_co_u32_e64 v10, s[0:1], 0, v8, s[0:1]
	v_cmp_le_u32_e32 vcc, s7, v1
	v_add_co_u32_e64 v11, s[0:1], 1, v7
	v_cndmask_b32_e64 v6, 0, -1, vcc
	v_cmp_le_u32_e32 vcc, s6, v0
	v_addc_co_u32_e64 v12, s[0:1], 0, v8, s[0:1]
	v_cndmask_b32_e64 v0, 0, -1, vcc
	v_cmp_eq_u32_e32 vcc, s7, v1
	v_cmp_ne_u32_e64 s[0:1], 0, v5
	v_cndmask_b32_e32 v0, v6, v0, vcc
	v_cndmask_b32_e64 v5, v12, v10, s[0:1]
	v_cmp_ne_u32_e32 vcc, 0, v0
	v_cndmask_b32_e64 v0, v11, v9, s[0:1]
	v_cndmask_b32_e32 v1, v8, v5, vcc
	v_cndmask_b32_e32 v0, v7, v0, vcc
                                        ; implicit-def: $vgpr5
.LBB21_3:
	s_or_saveexec_b64 s[0:1], s[2:3]
	s_load_dwordx2 s[14:15], s[4:5], 0x10
	s_load_dword s2, s[4:5], 0x18
	s_load_dwordx4 s[8:11], s[4:5], 0x20
	s_xor_b64 exec, exec, s[0:1]
	s_cbranch_execz .LBB21_5
; %bb.4:
	v_cvt_f32_u32_e32 v0, s6
	s_sub_i32 s3, 0, s6
	v_rcp_iflag_f32_e32 v0, v0
	v_mul_f32_e32 v0, 0x4f7ffffe, v0
	v_cvt_u32_f32_e32 v0, v0
	v_mul_lo_u32 v1, s3, v0
	v_mul_hi_u32 v1, v0, v1
	v_add_u32_e32 v0, v0, v1
	v_mul_hi_u32 v0, v5, v0
	v_mul_lo_u32 v1, v0, s6
	v_add_u32_e32 v6, 1, v0
	v_sub_u32_e32 v1, v5, v1
	v_subrev_u32_e32 v5, s6, v1
	v_cmp_le_u32_e32 vcc, s6, v1
	v_cndmask_b32_e32 v1, v1, v5, vcc
	v_cndmask_b32_e32 v0, v0, v6, vcc
	v_add_u32_e32 v5, 1, v0
	v_cmp_le_u32_e32 vcc, s6, v1
	v_cndmask_b32_e32 v0, v0, v5, vcc
	v_mov_b32_e32 v1, 0
.LBB21_5:
	s_or_b64 exec, exec, s[0:1]
	v_add_co_u32_e32 v0, vcc, v0, v4
	v_addc_co_u32_e32 v1, vcc, 0, v1, vcc
	v_add_co_u32_e32 v0, vcc, 1, v0
	v_addc_co_u32_e32 v1, vcc, 0, v1, vcc
	v_cmp_lt_u64_e32 vcc, 1, v[0:1]
	s_waitcnt lgkmcnt(0)
	s_lshl_b32 s26, s2, 16
	s_pack_lh_b32_b16 s27, 0, s16
	s_lshl_b32 s28, s16, 16
	s_mov_b64 s[0:1], 0
                                        ; implicit-def: $vgpr4_vgpr5
	s_and_saveexec_b64 s[2:3], vcc
	s_xor_b64 s[4:5], exec, s[2:3]
	s_cbranch_execnz .LBB21_8
; %bb.6:
	s_andn2_saveexec_b64 s[2:3], s[4:5]
	s_cbranch_execnz .LBB21_11
.LBB21_7:
	s_or_b64 exec, exec, s[2:3]
	s_and_b64 exec, exec, s[0:1]
	s_cbranch_execnz .LBB21_12
	s_branch .LBB21_18
.LBB21_8:
	v_mov_b32_e32 v5, s7
	v_add_co_u32_e32 v4, vcc, s6, v2
	v_lshlrev_b64 v[6:7], 1, v[2:3]
	v_addc_co_u32_e32 v5, vcc, v3, v5, vcc
	v_mov_b32_e32 v9, v1
	v_mov_b32_e32 v11, s11
	v_add_co_u32_e32 v10, vcc, s10, v6
	v_and_b32_e32 v8, -2, v0
	s_lshl_b64 s[20:21], s[6:7], 1
	v_addc_co_u32_e32 v11, vcc, v11, v7, vcc
	v_mov_b32_e32 v13, v9
	v_mov_b32_e32 v7, v5
	s_mov_b32 s29, s26
	s_mov_b32 s30, s27
	;; [unrolled: 1-line block ×9, first 2 shown]
	s_lshl_b64 s[24:25], s[6:7], 2
	s_mov_b64 s[22:23], 0
	v_mov_b32_e32 v14, s15
	s_movk_i32 s35, 0x7fff
	v_mov_b32_e32 v15, s15
	v_mov_b32_e32 v16, 1
	;; [unrolled: 1-line block ×11, first 2 shown]
.LBB21_9:                               ; =>This Inner Loop Header: Depth=1
	v_not_b32_e32 v22, v6
	v_not_b32_e32 v23, v7
	v_add_co_u32_e64 v22, s[2:3], s33, v22
	v_not_b32_e32 v24, v4
	v_addc_co_u32_e64 v23, s[2:3], v14, v23, s[2:3]
	v_not_b32_e32 v25, v5
	v_add_co_u32_e64 v24, s[2:3], s14, v24
	v_addc_co_u32_e64 v25, s[2:3], v15, v25, s[2:3]
	v_xor_b32_e32 v26, v24, v25
	v_ashrrev_i32_e32 v26, 31, v26
	v_ffbh_i32_e32 v27, v25
	v_add_u32_e32 v26, 32, v26
	v_add_u32_e32 v27, -1, v27
	v_min_u32_e32 v26, v27, v26
	v_lshlrev_b64 v[24:25], v26, v[24:25]
	v_cmp_gt_i64_e32 vcc, s[18:19], v[6:7]
	v_min_u32_e32 v24, 1, v24
	v_or_b32_e32 v24, v25, v24
	v_cvt_f32_i32_e32 v24, v24
	v_sub_u32_e32 v25, 32, v26
	v_ffbh_i32_e32 v26, v23
	v_add_u32_e32 v26, -1, v26
	v_ldexp_f32 v24, v24, v25
	v_xor_b32_e32 v25, v22, v23
	v_ashrrev_i32_e32 v25, 31, v25
	v_add_u32_e32 v25, 32, v25
	v_min_u32_e32 v25, v26, v25
	v_lshlrev_b64 v[22:23], v25, v[22:23]
	v_cmp_gt_i64_e64 s[0:1], s[16:17], v[4:5]
	v_min_u32_e32 v22, 1, v22
	v_or_b32_e32 v22, v23, v22
	v_cvt_f32_i32_e32 v22, v22
	v_sub_u32_e32 v23, 32, v25
	v_and_b32_sdwa v25, v24, v16 dst_sel:DWORD dst_unused:UNUSED_PAD src0_sel:WORD_1 src1_sel:DWORD
	v_ldexp_f32 v22, v22, v23
	v_and_b32_sdwa v23, v22, v16 dst_sel:DWORD dst_unused:UNUSED_PAD src0_sel:WORD_1 src1_sel:DWORD
	v_add3_u32 v22, v22, v23, s35
	v_add3_u32 v23, v24, v25, s35
	v_and_b32_e32 v23, 0xffff0000, v23
	v_and_b32_e32 v22, 0xffff0000, v22
	v_mul_f32_e32 v23, s26, v23
	v_mul_f32_e32 v22, s29, v22
	v_and_b32_sdwa v25, v23, v16 dst_sel:DWORD dst_unused:UNUSED_PAD src0_sel:WORD_1 src1_sel:DWORD
	v_and_b32_sdwa v24, v22, v16 dst_sel:DWORD dst_unused:UNUSED_PAD src0_sel:WORD_1 src1_sel:DWORD
	v_add3_u32 v25, v23, v25, s35
	v_add3_u32 v24, v22, v24, s35
	v_and_b32_e32 v25, 0xffff0000, v25
	v_cmp_o_f32_e64 s[2:3], v23, v23
	v_and_b32_e32 v24, 0xffff0000, v24
	v_cndmask_b32_e64 v23, v17, v25, s[2:3]
	v_cmp_o_f32_e64 s[2:3], v22, v22
	v_cndmask_b32_e64 v22, v17, v24, s[2:3]
	v_sub_f32_e32 v24, s30, v22
	v_ffbh_u32_e32 v22, v5
	v_min_u32_e32 v26, 32, v22
	v_sub_f32_e32 v25, s27, v23
	v_lshlrev_b64 v[22:23], v26, v[4:5]
	v_min_u32_e32 v22, 1, v22
	v_or_b32_e32 v22, v23, v22
	v_cvt_f32_u32_e32 v22, v22
	v_sub_u32_e32 v23, 32, v26
	v_ldexp_f32 v26, v22, v23
	v_ffbh_u32_e32 v22, v7
	v_min_u32_e32 v27, 32, v22
	v_lshlrev_b64 v[22:23], v27, v[6:7]
	v_min_u32_e32 v22, 1, v22
	v_or_b32_e32 v22, v23, v22
	v_cvt_f32_u32_e32 v22, v22
	v_sub_u32_e32 v23, 32, v27
	v_and_b32_sdwa v27, v26, v16 dst_sel:DWORD dst_unused:UNUSED_PAD src0_sel:WORD_1 src1_sel:DWORD
	v_ldexp_f32 v22, v22, v23
	v_and_b32_sdwa v23, v22, v16 dst_sel:DWORD dst_unused:UNUSED_PAD src0_sel:WORD_1 src1_sel:DWORD
	v_add3_u32 v22, v22, v23, s35
	v_add3_u32 v23, v26, v27, s35
	v_and_b32_e32 v23, 0xffff0000, v23
	v_and_b32_e32 v22, 0xffff0000, v22
	v_mul_f32_e32 v23, s26, v23
	v_mul_f32_e32 v22, s29, v22
	v_and_b32_sdwa v27, v23, v16 dst_sel:DWORD dst_unused:UNUSED_PAD src0_sel:WORD_1 src1_sel:DWORD
	v_and_b32_sdwa v26, v22, v16 dst_sel:DWORD dst_unused:UNUSED_PAD src0_sel:WORD_1 src1_sel:DWORD
	v_add3_u32 v27, v23, v27, s35
	v_add3_u32 v26, v22, v26, s35
	v_and_b32_e32 v27, 0xffff0000, v27
	v_cmp_o_f32_e64 s[2:3], v23, v23
	v_and_b32_e32 v26, 0xffff0000, v26
	v_cndmask_b32_e64 v23, v17, v27, s[2:3]
	v_cmp_o_f32_e64 s[2:3], v22, v22
	v_cndmask_b32_e64 v22, v17, v26, s[2:3]
	v_add_f32_e32 v22, s31, v22
	v_add_f32_e32 v23, s28, v23
	v_cndmask_b32_e32 v22, v24, v22, vcc
	v_cndmask_b32_e64 v23, v25, v23, s[0:1]
	v_and_b32_sdwa v24, v22, v16 dst_sel:DWORD dst_unused:UNUSED_PAD src0_sel:WORD_1 src1_sel:DWORD
	v_and_b32_sdwa v25, v23, v16 dst_sel:DWORD dst_unused:UNUSED_PAD src0_sel:WORD_1 src1_sel:DWORD
	v_add3_u32 v24, v22, v24, s35
	v_add3_u32 v25, v23, v25, s35
	v_lshrrev_b32_e32 v24, 16, v24
	v_cmp_o_f32_e32 vcc, v22, v22
	v_lshrrev_b32_e32 v25, 16, v25
	v_cndmask_b32_e32 v24, v18, v24, vcc
	v_cmp_o_f32_e32 vcc, v23, v23
	v_cndmask_b32_e32 v25, v18, v25, vcc
	v_add_co_u32_e32 v22, vcc, s20, v10
	v_addc_co_u32_e32 v23, vcc, v11, v19, vcc
	v_add_co_u32_e32 v6, vcc, s34, v6
	v_addc_co_u32_e32 v7, vcc, v7, v20, vcc
	;; [unrolled: 2-line block ×3, first 2 shown]
	v_add_co_u32_e32 v12, vcc, -2, v12
	v_addc_co_u32_e32 v13, vcc, -1, v13, vcc
	global_store_short v[10:11], v25, off
	global_store_short v[22:23], v24, off
	v_add_co_u32_e32 v10, vcc, s24, v10
	v_mov_b32_e32 v22, s25
	v_addc_co_u32_e32 v11, vcc, v11, v22, vcc
	v_cmp_eq_u64_e32 vcc, 0, v[12:13]
	s_or_b64 s[22:23], vcc, s[22:23]
	s_andn2_b64 exec, exec, s[22:23]
	s_cbranch_execnz .LBB21_9
; %bb.10:
	s_or_b64 exec, exec, s[22:23]
	v_mad_u64_u32 v[2:3], s[0:1], v8, s6, v[2:3]
	v_mul_lo_u32 v4, v8, s7
	v_mul_lo_u32 v5, v9, s6
	v_cmp_ne_u64_e32 vcc, v[0:1], v[8:9]
	s_and_b64 s[0:1], vcc, exec
	v_add3_u32 v3, v5, v3, v4
	v_mov_b32_e32 v4, s20
	v_mov_b32_e32 v5, s21
	s_andn2_saveexec_b64 s[2:3], s[4:5]
	s_cbranch_execz .LBB21_7
.LBB21_11:
	s_lshl_b64 s[4:5], s[6:7], 1
	v_mov_b32_e32 v4, s4
	v_mov_b32_e32 v5, s5
	s_or_b64 s[0:1], s[0:1], exec
	s_or_b64 exec, exec, s[2:3]
	s_and_b64 exec, exec, s[0:1]
	s_cbranch_execz .LBB21_18
.LBB21_12:
	v_not_b32_e32 v0, v2
	v_not_b32_e32 v1, v3
	v_mov_b32_e32 v6, s15
	v_add_co_u32_e32 v0, vcc, s14, v0
	v_addc_co_u32_e32 v1, vcc, v1, v6, vcc
	v_lshlrev_b64 v[6:7], 1, v[2:3]
	v_mov_b32_e32 v8, s11
	v_add_co_u32_e32 v6, vcc, s10, v6
	v_addc_co_u32_e32 v7, vcc, v8, v7, vcc
	s_mov_b64 s[2:3], 0
	s_movk_i32 s4, 0x7fff
	v_mov_b32_e32 v8, 0x7fc00000
	v_mov_b32_e32 v9, 0x7fc0
	s_branch .LBB21_14
.LBB21_13:                              ;   in Loop: Header=BB21_14 Depth=1
	s_or_b64 exec, exec, s[0:1]
	v_bfe_u32 v11, v10, 16, 1
	v_add3_u32 v11, v10, v11, s4
	v_cmp_o_f32_e32 vcc, v10, v10
	v_cndmask_b32_sdwa v10, v9, v11, vcc dst_sel:DWORD dst_unused:UNUSED_PAD src0_sel:DWORD src1_sel:WORD_1
	global_store_short v[6:7], v10, off
	v_mov_b32_e32 v10, s7
	v_add_co_u32_e32 v2, vcc, s6, v2
	v_addc_co_u32_e32 v3, vcc, v3, v10, vcc
	v_cmp_le_i64_e32 vcc, s[12:13], v[2:3]
	v_subrev_co_u32_e64 v0, s[0:1], s6, v0
	s_or_b64 s[2:3], vcc, s[2:3]
	v_add_co_u32_e32 v6, vcc, v6, v4
	v_subb_co_u32_e64 v1, s[0:1], v1, v10, s[0:1]
	v_addc_co_u32_e32 v7, vcc, v7, v5, vcc
	s_andn2_b64 exec, exec, s[2:3]
	s_cbranch_execz .LBB21_18
.LBB21_14:                              ; =>This Inner Loop Header: Depth=1
	v_cmp_le_i64_e32 vcc, s[8:9], v[2:3]
                                        ; implicit-def: $vgpr10
	s_and_saveexec_b64 s[0:1], vcc
	s_xor_b64 s[0:1], exec, s[0:1]
	s_cbranch_execz .LBB21_16
; %bb.15:                               ;   in Loop: Header=BB21_14 Depth=1
	v_xor_b32_e32 v11, v0, v1
	v_ffbh_i32_e32 v10, v1
	v_ashrrev_i32_e32 v11, 31, v11
	v_add_u32_e32 v10, -1, v10
	v_add_u32_e32 v11, 32, v11
	v_min_u32_e32 v12, v10, v11
	v_lshlrev_b64 v[10:11], v12, v[0:1]
	v_min_u32_e32 v10, 1, v10
	v_or_b32_e32 v10, v11, v10
	v_cvt_f32_i32_e32 v10, v10
	v_sub_u32_e32 v11, 32, v12
	v_ldexp_f32 v10, v10, v11
	v_bfe_u32 v11, v10, 16, 1
	v_add3_u32 v10, v10, v11, s4
	v_and_b32_e32 v10, 0xffff0000, v10
	v_mul_f32_e32 v10, s26, v10
	v_bfe_u32 v11, v10, 16, 1
	v_add3_u32 v11, v10, v11, s4
	v_and_b32_e32 v11, 0xffff0000, v11
	v_cmp_o_f32_e32 vcc, v10, v10
	v_cndmask_b32_e32 v10, v8, v11, vcc
	v_sub_f32_e32 v10, s27, v10
.LBB21_16:                              ;   in Loop: Header=BB21_14 Depth=1
	s_andn2_saveexec_b64 s[0:1], s[0:1]
	s_cbranch_execz .LBB21_13
; %bb.17:                               ;   in Loop: Header=BB21_14 Depth=1
	v_ffbh_u32_e32 v10, v3
	v_min_u32_e32 v12, 32, v10
	v_lshlrev_b64 v[10:11], v12, v[2:3]
	v_min_u32_e32 v10, 1, v10
	v_or_b32_e32 v10, v11, v10
	v_cvt_f32_u32_e32 v10, v10
	v_sub_u32_e32 v11, 32, v12
	v_ldexp_f32 v10, v10, v11
	v_bfe_u32 v11, v10, 16, 1
	v_add3_u32 v10, v10, v11, s4
	v_and_b32_e32 v10, 0xffff0000, v10
	v_mul_f32_e32 v10, s26, v10
	v_bfe_u32 v11, v10, 16, 1
	v_add3_u32 v11, v10, v11, s4
	v_and_b32_e32 v11, 0xffff0000, v11
	v_cmp_o_f32_e32 vcc, v10, v10
	v_cndmask_b32_e32 v10, v8, v11, vcc
	v_add_f32_e32 v10, s28, v10
	s_branch .LBB21_13
.LBB21_18:
	s_endpgm
	.section	.rodata,"a",@progbits
	.p2align	6, 0x0
	.amdhsa_kernel _ZN12_GLOBAL__N_141elementwise_kernel_with_index_grid_strideIlZZZN2at6native17linspace_cuda_outERKN3c106ScalarES6_lRNS1_6TensorEENKUlvE0_clEvENKUlvE4_clEvEUllE_EEvT_T0_PN15function_traitsISD_E11result_typeE
		.amdhsa_group_segment_fixed_size 0
		.amdhsa_private_segment_fixed_size 0
		.amdhsa_kernarg_size 304
		.amdhsa_user_sgpr_count 6
		.amdhsa_user_sgpr_private_segment_buffer 1
		.amdhsa_user_sgpr_dispatch_ptr 0
		.amdhsa_user_sgpr_queue_ptr 0
		.amdhsa_user_sgpr_kernarg_segment_ptr 1
		.amdhsa_user_sgpr_dispatch_id 0
		.amdhsa_user_sgpr_flat_scratch_init 0
		.amdhsa_user_sgpr_private_segment_size 0
		.amdhsa_uses_dynamic_stack 0
		.amdhsa_system_sgpr_private_segment_wavefront_offset 0
		.amdhsa_system_sgpr_workgroup_id_x 1
		.amdhsa_system_sgpr_workgroup_id_y 0
		.amdhsa_system_sgpr_workgroup_id_z 0
		.amdhsa_system_sgpr_workgroup_info 0
		.amdhsa_system_vgpr_workitem_id 0
		.amdhsa_next_free_vgpr 28
		.amdhsa_next_free_sgpr 36
		.amdhsa_reserve_vcc 1
		.amdhsa_reserve_flat_scratch 0
		.amdhsa_float_round_mode_32 0
		.amdhsa_float_round_mode_16_64 0
		.amdhsa_float_denorm_mode_32 3
		.amdhsa_float_denorm_mode_16_64 3
		.amdhsa_dx10_clamp 1
		.amdhsa_ieee_mode 1
		.amdhsa_fp16_overflow 0
		.amdhsa_exception_fp_ieee_invalid_op 0
		.amdhsa_exception_fp_denorm_src 0
		.amdhsa_exception_fp_ieee_div_zero 0
		.amdhsa_exception_fp_ieee_overflow 0
		.amdhsa_exception_fp_ieee_underflow 0
		.amdhsa_exception_fp_ieee_inexact 0
		.amdhsa_exception_int_div_zero 0
	.end_amdhsa_kernel
	.section	.text._ZN12_GLOBAL__N_141elementwise_kernel_with_index_grid_strideIlZZZN2at6native17linspace_cuda_outERKN3c106ScalarES6_lRNS1_6TensorEENKUlvE0_clEvENKUlvE4_clEvEUllE_EEvT_T0_PN15function_traitsISD_E11result_typeE,"axG",@progbits,_ZN12_GLOBAL__N_141elementwise_kernel_with_index_grid_strideIlZZZN2at6native17linspace_cuda_outERKN3c106ScalarES6_lRNS1_6TensorEENKUlvE0_clEvENKUlvE4_clEvEUllE_EEvT_T0_PN15function_traitsISD_E11result_typeE,comdat
.Lfunc_end21:
	.size	_ZN12_GLOBAL__N_141elementwise_kernel_with_index_grid_strideIlZZZN2at6native17linspace_cuda_outERKN3c106ScalarES6_lRNS1_6TensorEENKUlvE0_clEvENKUlvE4_clEvEUllE_EEvT_T0_PN15function_traitsISD_E11result_typeE, .Lfunc_end21-_ZN12_GLOBAL__N_141elementwise_kernel_with_index_grid_strideIlZZZN2at6native17linspace_cuda_outERKN3c106ScalarES6_lRNS1_6TensorEENKUlvE0_clEvENKUlvE4_clEvEUllE_EEvT_T0_PN15function_traitsISD_E11result_typeE
                                        ; -- End function
	.set _ZN12_GLOBAL__N_141elementwise_kernel_with_index_grid_strideIlZZZN2at6native17linspace_cuda_outERKN3c106ScalarES6_lRNS1_6TensorEENKUlvE0_clEvENKUlvE4_clEvEUllE_EEvT_T0_PN15function_traitsISD_E11result_typeE.num_vgpr, 28
	.set _ZN12_GLOBAL__N_141elementwise_kernel_with_index_grid_strideIlZZZN2at6native17linspace_cuda_outERKN3c106ScalarES6_lRNS1_6TensorEENKUlvE0_clEvENKUlvE4_clEvEUllE_EEvT_T0_PN15function_traitsISD_E11result_typeE.num_agpr, 0
	.set _ZN12_GLOBAL__N_141elementwise_kernel_with_index_grid_strideIlZZZN2at6native17linspace_cuda_outERKN3c106ScalarES6_lRNS1_6TensorEENKUlvE0_clEvENKUlvE4_clEvEUllE_EEvT_T0_PN15function_traitsISD_E11result_typeE.numbered_sgpr, 36
	.set _ZN12_GLOBAL__N_141elementwise_kernel_with_index_grid_strideIlZZZN2at6native17linspace_cuda_outERKN3c106ScalarES6_lRNS1_6TensorEENKUlvE0_clEvENKUlvE4_clEvEUllE_EEvT_T0_PN15function_traitsISD_E11result_typeE.num_named_barrier, 0
	.set _ZN12_GLOBAL__N_141elementwise_kernel_with_index_grid_strideIlZZZN2at6native17linspace_cuda_outERKN3c106ScalarES6_lRNS1_6TensorEENKUlvE0_clEvENKUlvE4_clEvEUllE_EEvT_T0_PN15function_traitsISD_E11result_typeE.private_seg_size, 0
	.set _ZN12_GLOBAL__N_141elementwise_kernel_with_index_grid_strideIlZZZN2at6native17linspace_cuda_outERKN3c106ScalarES6_lRNS1_6TensorEENKUlvE0_clEvENKUlvE4_clEvEUllE_EEvT_T0_PN15function_traitsISD_E11result_typeE.uses_vcc, 1
	.set _ZN12_GLOBAL__N_141elementwise_kernel_with_index_grid_strideIlZZZN2at6native17linspace_cuda_outERKN3c106ScalarES6_lRNS1_6TensorEENKUlvE0_clEvENKUlvE4_clEvEUllE_EEvT_T0_PN15function_traitsISD_E11result_typeE.uses_flat_scratch, 0
	.set _ZN12_GLOBAL__N_141elementwise_kernel_with_index_grid_strideIlZZZN2at6native17linspace_cuda_outERKN3c106ScalarES6_lRNS1_6TensorEENKUlvE0_clEvENKUlvE4_clEvEUllE_EEvT_T0_PN15function_traitsISD_E11result_typeE.has_dyn_sized_stack, 0
	.set _ZN12_GLOBAL__N_141elementwise_kernel_with_index_grid_strideIlZZZN2at6native17linspace_cuda_outERKN3c106ScalarES6_lRNS1_6TensorEENKUlvE0_clEvENKUlvE4_clEvEUllE_EEvT_T0_PN15function_traitsISD_E11result_typeE.has_recursion, 0
	.set _ZN12_GLOBAL__N_141elementwise_kernel_with_index_grid_strideIlZZZN2at6native17linspace_cuda_outERKN3c106ScalarES6_lRNS1_6TensorEENKUlvE0_clEvENKUlvE4_clEvEUllE_EEvT_T0_PN15function_traitsISD_E11result_typeE.has_indirect_call, 0
	.section	.AMDGPU.csdata,"",@progbits
; Kernel info:
; codeLenInByte = 2300
; TotalNumSgprs: 40
; NumVgprs: 28
; ScratchSize: 0
; MemoryBound: 0
; FloatMode: 240
; IeeeMode: 1
; LDSByteSize: 0 bytes/workgroup (compile time only)
; SGPRBlocks: 4
; VGPRBlocks: 6
; NumSGPRsForWavesPerEU: 40
; NumVGPRsForWavesPerEU: 28
; Occupancy: 9
; WaveLimiterHint : 0
; COMPUTE_PGM_RSRC2:SCRATCH_EN: 0
; COMPUTE_PGM_RSRC2:USER_SGPR: 6
; COMPUTE_PGM_RSRC2:TRAP_HANDLER: 0
; COMPUTE_PGM_RSRC2:TGID_X_EN: 1
; COMPUTE_PGM_RSRC2:TGID_Y_EN: 0
; COMPUTE_PGM_RSRC2:TGID_Z_EN: 0
; COMPUTE_PGM_RSRC2:TIDIG_COMP_CNT: 0
	.section	.text._ZN12_GLOBAL__N_141elementwise_kernel_with_index_grid_strideIiZZZN2at6native17logspace_cuda_outERKN3c106ScalarES6_ldRNS1_6TensorEENKUlvE_clEvENKUlvE_clEvEUllE_EEvT_T0_PN15function_traitsISD_E11result_typeE,"axG",@progbits,_ZN12_GLOBAL__N_141elementwise_kernel_with_index_grid_strideIiZZZN2at6native17logspace_cuda_outERKN3c106ScalarES6_ldRNS1_6TensorEENKUlvE_clEvENKUlvE_clEvEUllE_EEvT_T0_PN15function_traitsISD_E11result_typeE,comdat
	.globl	_ZN12_GLOBAL__N_141elementwise_kernel_with_index_grid_strideIiZZZN2at6native17logspace_cuda_outERKN3c106ScalarES6_ldRNS1_6TensorEENKUlvE_clEvENKUlvE_clEvEUllE_EEvT_T0_PN15function_traitsISD_E11result_typeE ; -- Begin function _ZN12_GLOBAL__N_141elementwise_kernel_with_index_grid_strideIiZZZN2at6native17logspace_cuda_outERKN3c106ScalarES6_ldRNS1_6TensorEENKUlvE_clEvENKUlvE_clEvEUllE_EEvT_T0_PN15function_traitsISD_E11result_typeE
	.p2align	8
	.type	_ZN12_GLOBAL__N_141elementwise_kernel_with_index_grid_strideIiZZZN2at6native17logspace_cuda_outERKN3c106ScalarES6_ldRNS1_6TensorEENKUlvE_clEvENKUlvE_clEvEUllE_EEvT_T0_PN15function_traitsISD_E11result_typeE,@function
_ZN12_GLOBAL__N_141elementwise_kernel_with_index_grid_strideIiZZZN2at6native17logspace_cuda_outERKN3c106ScalarES6_ldRNS1_6TensorEENKUlvE_clEvENKUlvE_clEvEUllE_EEvT_T0_PN15function_traitsISD_E11result_typeE: ; @_ZN12_GLOBAL__N_141elementwise_kernel_with_index_grid_strideIiZZZN2at6native17logspace_cuda_outERKN3c106ScalarES6_ldRNS1_6TensorEENKUlvE_clEvENKUlvE_clEvEUllE_EEvT_T0_PN15function_traitsISD_E11result_typeE
; %bb.0:
	s_load_dword s2, s[4:5], 0x3c
	s_load_dword s14, s[4:5], 0x0
	s_add_u32 s0, s4, 48
	s_addc_u32 s1, s5, 0
	s_waitcnt lgkmcnt(0)
	s_and_b32 s2, s2, 0xffff
	s_mul_i32 s6, s6, s2
	v_add_u32_e32 v0, s6, v0
	v_cmp_gt_i32_e32 vcc, s14, v0
	s_and_saveexec_b64 s[6:7], vcc
	s_cbranch_execz .LBB22_7
; %bb.1:
	s_load_dword s3, s[0:1], 0x0
	s_load_dwordx4 s[20:23], s[4:5], 0x8
	s_load_dword s15, s[4:5], 0x18
	s_load_dwordx4 s[8:11], s[4:5], 0x20
	v_ashrrev_i32_e32 v1, 31, v0
	s_waitcnt lgkmcnt(0)
	s_mul_i32 s16, s3, s2
	v_not_b32_e32 v2, v0
	v_not_b32_e32 v3, v1
	v_mov_b32_e32 v6, s23
	v_add_co_u32_e32 v2, vcc, s22, v2
	s_ashr_i32 s0, s16, 31
	v_cvt_f32_ubyte1_e32 v4, s20
	v_cvt_f32_ubyte0_e32 v5, s20
	v_cmp_eq_f32_e64 s[6:7], s21, 1.0
	v_addc_co_u32_e32 v3, vcc, v3, v6, vcc
	s_mov_b64 s[12:13], 0
	v_mov_b32_e32 v6, s21
	s_mov_b32 s17, 0x3f2aaaab
	v_mov_b32_e32 v7, 0x3ecccdef
	s_mov_b32 s18, 0x3f317218
	s_movk_i32 s19, 0x204
	s_mov_b32 s20, 0x7f800000
	s_mov_b32 s21, 0x42b17218
	v_mov_b32_e32 v8, 0x37000000
	s_mov_b32 s22, 0x3fb8aa3b
	s_mov_b32 s23, 0xc2ce8ed0
	v_mov_b32_e32 v9, 0x7f800000
	s_brev_b32 s24, -2
	v_mov_b32_e32 v10, 0x7fc00000
	v_mov_b32_e32 v11, s11
	;; [unrolled: 1-line block ×3, first 2 shown]
	s_branch .LBB22_3
.LBB22_2:                               ;   in Loop: Header=BB22_3 Depth=1
	s_or_b64 exec, exec, s[0:1]
	v_cndmask_b32_e64 v15, v13, 1.0, s[6:7]
	v_cmp_neq_f32_e32 vcc, 0, v15
	v_cndmask_b32_e32 v16, 1.0, v6, vcc
	v_frexp_mant_f32_e64 v13, |v16|
	v_cmp_gt_f32_e32 vcc, s17, v13
	v_cndmask_b32_e64 v14, 1.0, 2.0, vcc
	v_mul_f32_e32 v13, v13, v14
	v_add_f32_e32 v17, 1.0, v13
	v_add_f32_e32 v18, -1.0, v17
	v_add_f32_e32 v14, -1.0, v13
	v_sub_f32_e32 v13, v13, v18
	v_rcp_f32_e32 v18, v17
	v_cmp_gt_f32_e64 s[2:3], 0, v16
	v_cmp_lt_f32_e64 s[4:5], |v16|, 1.0
	v_mul_f32_e32 v19, v14, v18
	v_mul_f32_e32 v20, v17, v19
	v_fma_f32 v17, v19, v17, -v20
	v_fmac_f32_e32 v17, v19, v13
	v_add_f32_e32 v13, v20, v17
	v_sub_f32_e32 v21, v14, v13
	v_sub_f32_e32 v20, v13, v20
	;; [unrolled: 1-line block ×5, first 2 shown]
	v_add_f32_e32 v13, v14, v13
	v_add_f32_e32 v13, v21, v13
	v_mul_f32_e32 v13, v18, v13
	v_add_f32_e32 v17, v19, v13
	v_sub_f32_e32 v14, v17, v19
	v_sub_f32_e32 v18, v13, v14
	v_mul_f32_e32 v13, v17, v17
	v_fma_f32 v14, v17, v17, -v13
	v_add_f32_e32 v19, v18, v18
	v_fmac_f32_e32 v14, v17, v19
	v_add_f32_e32 v19, v13, v14
	v_sub_f32_e32 v13, v19, v13
	v_sub_f32_e32 v13, v14, v13
	v_mul_f32_e32 v14, v17, v19
	v_fma_f32 v21, v19, v17, -v14
	v_fmac_f32_e32 v21, v19, v18
	v_mov_b32_e32 v20, 0x3e91f4c4
	v_fmac_f32_e32 v21, v13, v17
	v_fmac_f32_e32 v20, 0x3e76c4e1, v19
	v_add_f32_e32 v22, v14, v21
	v_fma_f32 v20, v19, v20, v7
	v_sub_f32_e32 v14, v22, v14
	v_sub_f32_e32 v14, v21, v14
	v_mul_f32_e32 v21, v19, v20
	v_fma_f32 v19, v19, v20, -v21
	v_fmac_f32_e32 v19, v13, v20
	v_add_f32_e32 v13, v21, v19
	v_add_f32_e32 v20, 0x3f2aaaaa, v13
	v_sub_f32_e32 v21, v13, v21
	v_sub_f32_e32 v19, v19, v21
	v_add_f32_e32 v21, 0xbf2aaaaa, v20
	v_add_f32_e32 v19, 0x31739010, v19
	v_sub_f32_e32 v13, v13, v21
	v_add_f32_e32 v13, v19, v13
	v_add_f32_e32 v19, v20, v13
	v_sub_f32_e32 v20, v20, v19
	v_add_f32_e32 v13, v13, v20
	v_mul_f32_e32 v20, v22, v19
	v_fma_f32 v21, v22, v19, -v20
	v_fmac_f32_e32 v21, v22, v13
	v_fmac_f32_e32 v21, v14, v19
	v_cvt_f64_f32_e64 v[13:14], |v16|
	v_ldexp_f32 v17, v17, 1
	v_frexp_exp_i32_f64_e32 v13, v[13:14]
	v_subbrev_co_u32_e32 v13, vcc, 0, v13, vcc
	v_cvt_f32_i32_e32 v13, v13
	v_mul_f32_e32 v14, 0x3f317218, v13
	v_fma_f32 v19, v13, s18, -v14
	v_fmac_f32_e32 v19, 0xb102e308, v13
	v_ldexp_f32 v13, v18, 1
	v_add_f32_e32 v18, v14, v19
	v_sub_f32_e32 v14, v18, v14
	v_sub_f32_e32 v14, v19, v14
	v_add_f32_e32 v19, v20, v21
	v_sub_f32_e32 v20, v19, v20
	v_sub_f32_e32 v20, v21, v20
	;; [unrolled: 3-line block ×3, first 2 shown]
	v_add_f32_e32 v13, v13, v20
	v_add_f32_e32 v13, v13, v17
	v_add_f32_e32 v17, v21, v13
	v_sub_f32_e32 v19, v17, v21
	v_sub_f32_e32 v13, v13, v19
	v_add_f32_e32 v19, v18, v17
	v_sub_f32_e32 v20, v19, v18
	v_sub_f32_e32 v21, v19, v20
	;; [unrolled: 1-line block ×4, first 2 shown]
	v_add_f32_e32 v17, v17, v18
	v_add_f32_e32 v18, v14, v13
	v_sub_f32_e32 v20, v18, v14
	v_sub_f32_e32 v21, v18, v20
	;; [unrolled: 1-line block ×4, first 2 shown]
	v_add_f32_e32 v13, v13, v14
	v_add_f32_e32 v14, v18, v17
	;; [unrolled: 1-line block ×3, first 2 shown]
	v_sub_f32_e32 v18, v17, v19
	v_sub_f32_e32 v14, v14, v18
	v_add_f32_e32 v13, v13, v14
	v_add_f32_e32 v14, v17, v13
	v_sub_f32_e32 v17, v14, v17
	v_sub_f32_e32 v13, v13, v17
	v_mul_f32_e32 v17, v15, v14
	v_fma_f32 v14, v15, v14, -v17
	v_fmac_f32_e32 v14, v15, v13
	v_add_f32_e32 v13, v17, v14
	v_cmp_class_f32_e64 vcc, v17, s19
	v_sub_f32_e32 v18, v13, v17
	v_cndmask_b32_e32 v13, v13, v17, vcc
	v_sub_f32_e32 v14, v14, v18
	v_cmp_neq_f32_e64 vcc, |v13|, s20
	v_cndmask_b32_e32 v14, 0, v14, vcc
	v_cmp_eq_f32_e32 vcc, s21, v13
	v_cndmask_b32_e32 v17, 0, v8, vcc
	v_sub_f32_e32 v13, v13, v17
	v_add_f32_e32 v14, v17, v14
	v_mul_f32_e32 v17, 0x3fb8aa3b, v13
	v_fma_f32 v18, v13, s22, -v17
	v_rndne_f32_e32 v19, v17
	v_fmac_f32_e32 v18, 0x32a5705f, v13
	v_sub_f32_e32 v17, v17, v19
	v_add_f32_e32 v17, v17, v18
	v_exp_f32_e32 v17, v17
	v_cvt_i32_f32_e32 v18, v19
	v_cmp_ngt_f32_e32 vcc, s23, v13
	v_ldexp_f32 v17, v17, v18
	v_cndmask_b32_e32 v17, 0, v17, vcc
	v_cmp_nlt_f32_e32 vcc, s21, v13
	v_cndmask_b32_e32 v13, v9, v17, vcc
	v_fma_f32 v14, v13, v14, v13
	v_cmp_class_f32_e64 vcc, v13, s19
	v_cndmask_b32_e32 v13, v14, v13, vcc
	v_trunc_f32_e32 v14, v15
	v_cmp_eq_f32_e32 vcc, v14, v15
	v_mul_f32_e32 v14, 0.5, v15
	v_trunc_f32_e32 v17, v14
	v_cmp_neq_f32_e64 s[0:1], v17, v14
	s_and_b64 s[0:1], vcc, s[0:1]
	v_cndmask_b32_e64 v14, 1.0, v16, s[0:1]
	v_bfi_b32 v13, s24, v13, v14
	v_cndmask_b32_e32 v14, v10, v13, vcc
	v_cndmask_b32_e64 v13, v13, v14, s[2:3]
	v_cmp_neq_f32_e64 s[2:3], v15, |v15|
	s_xor_b64 s[2:3], s[2:3], s[4:5]
	v_cndmask_b32_e64 v14, v9, 0, s[2:3]
	v_cmp_neq_f32_e64 s[2:3], |v16|, 1.0
	v_cmp_class_f32_e64 vcc, v15, s19
	v_cndmask_b32_e64 v14, 1.0, v14, s[2:3]
	v_cndmask_b32_e32 v13, v13, v14, vcc
	v_cmp_eq_f32_e32 vcc, 0, v16
	v_cmp_gt_f32_e64 s[4:5], 0, v15
	s_xor_b64 s[4:5], s[4:5], vcc
	v_cmp_class_f32_e64 s[2:3], v16, s19
	v_cndmask_b32_e64 v14, v9, 0, s[4:5]
	v_cndmask_b32_e64 v17, 0, v16, s[0:1]
	s_or_b64 s[2:3], vcc, s[2:3]
	v_bfi_b32 v14, s24, v14, v17
	v_cndmask_b32_e64 v13, v13, v14, s[2:3]
	v_cmp_o_f32_e32 vcc, v16, v15
	v_cndmask_b32_e32 v13, v10, v13, vcc
	v_cvt_i32_f32_e32 v15, v13
	v_add_co_u32_e32 v13, vcc, s10, v0
	v_addc_co_u32_e32 v14, vcc, v11, v1, vcc
	v_add_co_u32_e32 v0, vcc, s16, v0
	v_addc_co_u32_e32 v1, vcc, v1, v12, vcc
	v_subrev_co_u32_e32 v2, vcc, s16, v2
	v_subb_co_u32_e32 v3, vcc, v3, v12, vcc
	v_cmp_le_i32_e32 vcc, s14, v0
	s_or_b64 s[12:13], vcc, s[12:13]
	global_store_byte v[13:14], v15, off
	s_andn2_b64 exec, exec, s[12:13]
	s_cbranch_execz .LBB22_7
.LBB22_3:                               ; =>This Inner Loop Header: Depth=1
	v_cmp_le_i64_e32 vcc, s[8:9], v[0:1]
                                        ; implicit-def: $vgpr13
	s_and_saveexec_b64 s[0:1], vcc
	s_xor_b64 s[0:1], exec, s[0:1]
	s_cbranch_execz .LBB22_5
; %bb.4:                                ;   in Loop: Header=BB22_3 Depth=1
	v_xor_b32_e32 v14, v2, v3
	v_ffbh_i32_e32 v13, v3
	v_ashrrev_i32_e32 v14, 31, v14
	v_add_u32_e32 v13, -1, v13
	v_add_u32_e32 v14, 32, v14
	v_min_u32_e32 v15, v13, v14
	v_lshlrev_b64 v[13:14], v15, v[2:3]
	v_min_u32_e32 v13, 1, v13
	v_or_b32_e32 v13, v14, v13
	v_cvt_f32_i32_e32 v13, v13
	v_sub_u32_e32 v14, 32, v15
	v_ldexp_f32 v13, v13, v14
	v_fma_f32 v13, -s15, v13, v4
.LBB22_5:                               ;   in Loop: Header=BB22_3 Depth=1
	s_andn2_saveexec_b64 s[0:1], s[0:1]
	s_cbranch_execz .LBB22_2
; %bb.6:                                ;   in Loop: Header=BB22_3 Depth=1
	v_cvt_f32_i32_e32 v13, v0
	v_fma_f32 v13, s15, v13, v5
	s_branch .LBB22_2
.LBB22_7:
	s_endpgm
	.section	.rodata,"a",@progbits
	.p2align	6, 0x0
	.amdhsa_kernel _ZN12_GLOBAL__N_141elementwise_kernel_with_index_grid_strideIiZZZN2at6native17logspace_cuda_outERKN3c106ScalarES6_ldRNS1_6TensorEENKUlvE_clEvENKUlvE_clEvEUllE_EEvT_T0_PN15function_traitsISD_E11result_typeE
		.amdhsa_group_segment_fixed_size 0
		.amdhsa_private_segment_fixed_size 0
		.amdhsa_kernarg_size 304
		.amdhsa_user_sgpr_count 6
		.amdhsa_user_sgpr_private_segment_buffer 1
		.amdhsa_user_sgpr_dispatch_ptr 0
		.amdhsa_user_sgpr_queue_ptr 0
		.amdhsa_user_sgpr_kernarg_segment_ptr 1
		.amdhsa_user_sgpr_dispatch_id 0
		.amdhsa_user_sgpr_flat_scratch_init 0
		.amdhsa_user_sgpr_private_segment_size 0
		.amdhsa_uses_dynamic_stack 0
		.amdhsa_system_sgpr_private_segment_wavefront_offset 0
		.amdhsa_system_sgpr_workgroup_id_x 1
		.amdhsa_system_sgpr_workgroup_id_y 0
		.amdhsa_system_sgpr_workgroup_id_z 0
		.amdhsa_system_sgpr_workgroup_info 0
		.amdhsa_system_vgpr_workitem_id 0
		.amdhsa_next_free_vgpr 23
		.amdhsa_next_free_sgpr 25
		.amdhsa_reserve_vcc 1
		.amdhsa_reserve_flat_scratch 0
		.amdhsa_float_round_mode_32 0
		.amdhsa_float_round_mode_16_64 0
		.amdhsa_float_denorm_mode_32 3
		.amdhsa_float_denorm_mode_16_64 3
		.amdhsa_dx10_clamp 1
		.amdhsa_ieee_mode 1
		.amdhsa_fp16_overflow 0
		.amdhsa_exception_fp_ieee_invalid_op 0
		.amdhsa_exception_fp_denorm_src 0
		.amdhsa_exception_fp_ieee_div_zero 0
		.amdhsa_exception_fp_ieee_overflow 0
		.amdhsa_exception_fp_ieee_underflow 0
		.amdhsa_exception_fp_ieee_inexact 0
		.amdhsa_exception_int_div_zero 0
	.end_amdhsa_kernel
	.section	.text._ZN12_GLOBAL__N_141elementwise_kernel_with_index_grid_strideIiZZZN2at6native17logspace_cuda_outERKN3c106ScalarES6_ldRNS1_6TensorEENKUlvE_clEvENKUlvE_clEvEUllE_EEvT_T0_PN15function_traitsISD_E11result_typeE,"axG",@progbits,_ZN12_GLOBAL__N_141elementwise_kernel_with_index_grid_strideIiZZZN2at6native17logspace_cuda_outERKN3c106ScalarES6_ldRNS1_6TensorEENKUlvE_clEvENKUlvE_clEvEUllE_EEvT_T0_PN15function_traitsISD_E11result_typeE,comdat
.Lfunc_end22:
	.size	_ZN12_GLOBAL__N_141elementwise_kernel_with_index_grid_strideIiZZZN2at6native17logspace_cuda_outERKN3c106ScalarES6_ldRNS1_6TensorEENKUlvE_clEvENKUlvE_clEvEUllE_EEvT_T0_PN15function_traitsISD_E11result_typeE, .Lfunc_end22-_ZN12_GLOBAL__N_141elementwise_kernel_with_index_grid_strideIiZZZN2at6native17logspace_cuda_outERKN3c106ScalarES6_ldRNS1_6TensorEENKUlvE_clEvENKUlvE_clEvEUllE_EEvT_T0_PN15function_traitsISD_E11result_typeE
                                        ; -- End function
	.set _ZN12_GLOBAL__N_141elementwise_kernel_with_index_grid_strideIiZZZN2at6native17logspace_cuda_outERKN3c106ScalarES6_ldRNS1_6TensorEENKUlvE_clEvENKUlvE_clEvEUllE_EEvT_T0_PN15function_traitsISD_E11result_typeE.num_vgpr, 23
	.set _ZN12_GLOBAL__N_141elementwise_kernel_with_index_grid_strideIiZZZN2at6native17logspace_cuda_outERKN3c106ScalarES6_ldRNS1_6TensorEENKUlvE_clEvENKUlvE_clEvEUllE_EEvT_T0_PN15function_traitsISD_E11result_typeE.num_agpr, 0
	.set _ZN12_GLOBAL__N_141elementwise_kernel_with_index_grid_strideIiZZZN2at6native17logspace_cuda_outERKN3c106ScalarES6_ldRNS1_6TensorEENKUlvE_clEvENKUlvE_clEvEUllE_EEvT_T0_PN15function_traitsISD_E11result_typeE.numbered_sgpr, 25
	.set _ZN12_GLOBAL__N_141elementwise_kernel_with_index_grid_strideIiZZZN2at6native17logspace_cuda_outERKN3c106ScalarES6_ldRNS1_6TensorEENKUlvE_clEvENKUlvE_clEvEUllE_EEvT_T0_PN15function_traitsISD_E11result_typeE.num_named_barrier, 0
	.set _ZN12_GLOBAL__N_141elementwise_kernel_with_index_grid_strideIiZZZN2at6native17logspace_cuda_outERKN3c106ScalarES6_ldRNS1_6TensorEENKUlvE_clEvENKUlvE_clEvEUllE_EEvT_T0_PN15function_traitsISD_E11result_typeE.private_seg_size, 0
	.set _ZN12_GLOBAL__N_141elementwise_kernel_with_index_grid_strideIiZZZN2at6native17logspace_cuda_outERKN3c106ScalarES6_ldRNS1_6TensorEENKUlvE_clEvENKUlvE_clEvEUllE_EEvT_T0_PN15function_traitsISD_E11result_typeE.uses_vcc, 1
	.set _ZN12_GLOBAL__N_141elementwise_kernel_with_index_grid_strideIiZZZN2at6native17logspace_cuda_outERKN3c106ScalarES6_ldRNS1_6TensorEENKUlvE_clEvENKUlvE_clEvEUllE_EEvT_T0_PN15function_traitsISD_E11result_typeE.uses_flat_scratch, 0
	.set _ZN12_GLOBAL__N_141elementwise_kernel_with_index_grid_strideIiZZZN2at6native17logspace_cuda_outERKN3c106ScalarES6_ldRNS1_6TensorEENKUlvE_clEvENKUlvE_clEvEUllE_EEvT_T0_PN15function_traitsISD_E11result_typeE.has_dyn_sized_stack, 0
	.set _ZN12_GLOBAL__N_141elementwise_kernel_with_index_grid_strideIiZZZN2at6native17logspace_cuda_outERKN3c106ScalarES6_ldRNS1_6TensorEENKUlvE_clEvENKUlvE_clEvEUllE_EEvT_T0_PN15function_traitsISD_E11result_typeE.has_recursion, 0
	.set _ZN12_GLOBAL__N_141elementwise_kernel_with_index_grid_strideIiZZZN2at6native17logspace_cuda_outERKN3c106ScalarES6_ldRNS1_6TensorEENKUlvE_clEvENKUlvE_clEvEUllE_EEvT_T0_PN15function_traitsISD_E11result_typeE.has_indirect_call, 0
	.section	.AMDGPU.csdata,"",@progbits
; Kernel info:
; codeLenInByte = 1260
; TotalNumSgprs: 29
; NumVgprs: 23
; ScratchSize: 0
; MemoryBound: 0
; FloatMode: 240
; IeeeMode: 1
; LDSByteSize: 0 bytes/workgroup (compile time only)
; SGPRBlocks: 3
; VGPRBlocks: 5
; NumSGPRsForWavesPerEU: 29
; NumVGPRsForWavesPerEU: 23
; Occupancy: 10
; WaveLimiterHint : 0
; COMPUTE_PGM_RSRC2:SCRATCH_EN: 0
; COMPUTE_PGM_RSRC2:USER_SGPR: 6
; COMPUTE_PGM_RSRC2:TRAP_HANDLER: 0
; COMPUTE_PGM_RSRC2:TGID_X_EN: 1
; COMPUTE_PGM_RSRC2:TGID_Y_EN: 0
; COMPUTE_PGM_RSRC2:TGID_Z_EN: 0
; COMPUTE_PGM_RSRC2:TIDIG_COMP_CNT: 0
	.section	.text._ZN12_GLOBAL__N_141elementwise_kernel_with_index_grid_strideIlZZZN2at6native17logspace_cuda_outERKN3c106ScalarES6_ldRNS1_6TensorEENKUlvE_clEvENKUlvE_clEvEUllE_EEvT_T0_PN15function_traitsISD_E11result_typeE,"axG",@progbits,_ZN12_GLOBAL__N_141elementwise_kernel_with_index_grid_strideIlZZZN2at6native17logspace_cuda_outERKN3c106ScalarES6_ldRNS1_6TensorEENKUlvE_clEvENKUlvE_clEvEUllE_EEvT_T0_PN15function_traitsISD_E11result_typeE,comdat
	.globl	_ZN12_GLOBAL__N_141elementwise_kernel_with_index_grid_strideIlZZZN2at6native17logspace_cuda_outERKN3c106ScalarES6_ldRNS1_6TensorEENKUlvE_clEvENKUlvE_clEvEUllE_EEvT_T0_PN15function_traitsISD_E11result_typeE ; -- Begin function _ZN12_GLOBAL__N_141elementwise_kernel_with_index_grid_strideIlZZZN2at6native17logspace_cuda_outERKN3c106ScalarES6_ldRNS1_6TensorEENKUlvE_clEvENKUlvE_clEvEUllE_EEvT_T0_PN15function_traitsISD_E11result_typeE
	.p2align	8
	.type	_ZN12_GLOBAL__N_141elementwise_kernel_with_index_grid_strideIlZZZN2at6native17logspace_cuda_outERKN3c106ScalarES6_ldRNS1_6TensorEENKUlvE_clEvENKUlvE_clEvEUllE_EEvT_T0_PN15function_traitsISD_E11result_typeE,@function
_ZN12_GLOBAL__N_141elementwise_kernel_with_index_grid_strideIlZZZN2at6native17logspace_cuda_outERKN3c106ScalarES6_ldRNS1_6TensorEENKUlvE_clEvENKUlvE_clEvEUllE_EEvT_T0_PN15function_traitsISD_E11result_typeE: ; @_ZN12_GLOBAL__N_141elementwise_kernel_with_index_grid_strideIlZZZN2at6native17logspace_cuda_outERKN3c106ScalarES6_ldRNS1_6TensorEENKUlvE_clEvENKUlvE_clEvEUllE_EEvT_T0_PN15function_traitsISD_E11result_typeE
; %bb.0:
	s_load_dword s2, s[4:5], 0x3c
	s_load_dwordx2 s[12:13], s[4:5], 0x0
	s_add_u32 s0, s4, 48
	s_addc_u32 s1, s5, 0
	v_mov_b32_e32 v1, 0
	s_waitcnt lgkmcnt(0)
	s_and_b32 s2, s2, 0xffff
	v_mov_b32_e32 v2, s6
	v_mad_u64_u32 v[0:1], s[6:7], s2, v2, v[0:1]
	v_cmp_gt_i64_e32 vcc, s[12:13], v[0:1]
	s_and_saveexec_b64 s[6:7], vcc
	s_cbranch_execz .LBB23_7
; %bb.1:
	s_load_dword s3, s[0:1], 0x0
	s_load_dwordx4 s[20:23], s[4:5], 0x8
	s_load_dword s16, s[4:5], 0x18
	s_load_dwordx4 s[8:11], s[4:5], 0x20
	v_not_b32_e32 v2, v0
	s_waitcnt lgkmcnt(0)
	s_mul_hi_u32 s0, s2, s3
	v_not_b32_e32 v3, v1
	v_mov_b32_e32 v6, s23
	v_add_co_u32_e32 v2, vcc, s22, v2
	s_mul_i32 s17, s2, s3
	v_cvt_f32_ubyte1_e32 v4, s20
	v_cvt_f32_ubyte0_e32 v5, s20
	v_cmp_eq_f32_e64 s[6:7], s21, 1.0
	v_addc_co_u32_e32 v3, vcc, v3, v6, vcc
	s_mov_b64 s[14:15], 0
	v_mov_b32_e32 v6, s21
	s_mov_b32 s18, 0x3f2aaaab
	v_mov_b32_e32 v7, 0x3ecccdef
	s_mov_b32 s19, 0x3f317218
	s_movk_i32 s20, 0x204
	s_mov_b32 s21, 0x7f800000
	s_mov_b32 s22, 0x42b17218
	v_mov_b32_e32 v8, 0x37000000
	s_mov_b32 s23, 0x3fb8aa3b
	s_mov_b32 s24, 0xc2ce8ed0
	v_mov_b32_e32 v9, 0x7f800000
	s_brev_b32 s25, -2
	v_mov_b32_e32 v10, 0x7fc00000
	v_mov_b32_e32 v11, s11
	;; [unrolled: 1-line block ×3, first 2 shown]
	s_branch .LBB23_3
.LBB23_2:                               ;   in Loop: Header=BB23_3 Depth=1
	s_or_b64 exec, exec, s[0:1]
	v_cndmask_b32_e64 v15, v13, 1.0, s[6:7]
	v_cmp_neq_f32_e32 vcc, 0, v15
	v_cndmask_b32_e32 v16, 1.0, v6, vcc
	v_frexp_mant_f32_e64 v13, |v16|
	v_cmp_gt_f32_e32 vcc, s18, v13
	v_cndmask_b32_e64 v14, 1.0, 2.0, vcc
	v_mul_f32_e32 v13, v13, v14
	v_add_f32_e32 v17, 1.0, v13
	v_add_f32_e32 v18, -1.0, v17
	v_add_f32_e32 v14, -1.0, v13
	v_sub_f32_e32 v13, v13, v18
	v_rcp_f32_e32 v18, v17
	v_cmp_gt_f32_e64 s[2:3], 0, v16
	v_cmp_lt_f32_e64 s[4:5], |v16|, 1.0
	v_mul_f32_e32 v19, v14, v18
	v_mul_f32_e32 v20, v17, v19
	v_fma_f32 v17, v19, v17, -v20
	v_fmac_f32_e32 v17, v19, v13
	v_add_f32_e32 v13, v20, v17
	v_sub_f32_e32 v21, v14, v13
	v_sub_f32_e32 v20, v13, v20
	;; [unrolled: 1-line block ×5, first 2 shown]
	v_add_f32_e32 v13, v14, v13
	v_add_f32_e32 v13, v21, v13
	v_mul_f32_e32 v13, v18, v13
	v_add_f32_e32 v17, v19, v13
	v_sub_f32_e32 v14, v17, v19
	v_sub_f32_e32 v18, v13, v14
	v_mul_f32_e32 v13, v17, v17
	v_fma_f32 v14, v17, v17, -v13
	v_add_f32_e32 v19, v18, v18
	v_fmac_f32_e32 v14, v17, v19
	v_add_f32_e32 v19, v13, v14
	v_sub_f32_e32 v13, v19, v13
	v_sub_f32_e32 v13, v14, v13
	v_mul_f32_e32 v14, v17, v19
	v_fma_f32 v21, v19, v17, -v14
	v_fmac_f32_e32 v21, v19, v18
	v_mov_b32_e32 v20, 0x3e91f4c4
	v_fmac_f32_e32 v21, v13, v17
	v_fmac_f32_e32 v20, 0x3e76c4e1, v19
	v_add_f32_e32 v22, v14, v21
	v_fma_f32 v20, v19, v20, v7
	v_sub_f32_e32 v14, v22, v14
	v_sub_f32_e32 v14, v21, v14
	v_mul_f32_e32 v21, v19, v20
	v_fma_f32 v19, v19, v20, -v21
	v_fmac_f32_e32 v19, v13, v20
	v_add_f32_e32 v13, v21, v19
	v_add_f32_e32 v20, 0x3f2aaaaa, v13
	v_sub_f32_e32 v21, v13, v21
	v_sub_f32_e32 v19, v19, v21
	v_add_f32_e32 v21, 0xbf2aaaaa, v20
	v_add_f32_e32 v19, 0x31739010, v19
	v_sub_f32_e32 v13, v13, v21
	v_add_f32_e32 v13, v19, v13
	v_add_f32_e32 v19, v20, v13
	v_sub_f32_e32 v20, v20, v19
	v_add_f32_e32 v13, v13, v20
	v_mul_f32_e32 v20, v22, v19
	v_fma_f32 v21, v22, v19, -v20
	v_fmac_f32_e32 v21, v22, v13
	v_fmac_f32_e32 v21, v14, v19
	v_cvt_f64_f32_e64 v[13:14], |v16|
	v_ldexp_f32 v17, v17, 1
	v_frexp_exp_i32_f64_e32 v13, v[13:14]
	v_subbrev_co_u32_e32 v13, vcc, 0, v13, vcc
	v_cvt_f32_i32_e32 v13, v13
	v_mul_f32_e32 v14, 0x3f317218, v13
	v_fma_f32 v19, v13, s19, -v14
	v_fmac_f32_e32 v19, 0xb102e308, v13
	v_ldexp_f32 v13, v18, 1
	v_add_f32_e32 v18, v14, v19
	v_sub_f32_e32 v14, v18, v14
	v_sub_f32_e32 v14, v19, v14
	v_add_f32_e32 v19, v20, v21
	v_sub_f32_e32 v20, v19, v20
	v_sub_f32_e32 v20, v21, v20
	;; [unrolled: 3-line block ×3, first 2 shown]
	v_add_f32_e32 v13, v13, v20
	v_add_f32_e32 v13, v13, v17
	;; [unrolled: 1-line block ×3, first 2 shown]
	v_sub_f32_e32 v19, v17, v21
	v_sub_f32_e32 v13, v13, v19
	v_add_f32_e32 v19, v18, v17
	v_sub_f32_e32 v20, v19, v18
	v_sub_f32_e32 v21, v19, v20
	;; [unrolled: 1-line block ×4, first 2 shown]
	v_add_f32_e32 v17, v17, v18
	v_add_f32_e32 v18, v14, v13
	v_sub_f32_e32 v20, v18, v14
	v_sub_f32_e32 v21, v18, v20
	;; [unrolled: 1-line block ×4, first 2 shown]
	v_add_f32_e32 v13, v13, v14
	v_add_f32_e32 v14, v18, v17
	;; [unrolled: 1-line block ×3, first 2 shown]
	v_sub_f32_e32 v18, v17, v19
	v_sub_f32_e32 v14, v14, v18
	v_add_f32_e32 v13, v13, v14
	v_add_f32_e32 v14, v17, v13
	v_sub_f32_e32 v17, v14, v17
	v_sub_f32_e32 v13, v13, v17
	v_mul_f32_e32 v17, v15, v14
	v_fma_f32 v14, v15, v14, -v17
	v_fmac_f32_e32 v14, v15, v13
	v_add_f32_e32 v13, v17, v14
	v_cmp_class_f32_e64 vcc, v17, s20
	v_sub_f32_e32 v18, v13, v17
	v_cndmask_b32_e32 v13, v13, v17, vcc
	v_sub_f32_e32 v14, v14, v18
	v_cmp_neq_f32_e64 vcc, |v13|, s21
	v_cndmask_b32_e32 v14, 0, v14, vcc
	v_cmp_eq_f32_e32 vcc, s22, v13
	v_cndmask_b32_e32 v17, 0, v8, vcc
	v_sub_f32_e32 v13, v13, v17
	v_add_f32_e32 v14, v17, v14
	v_mul_f32_e32 v17, 0x3fb8aa3b, v13
	v_fma_f32 v18, v13, s23, -v17
	v_rndne_f32_e32 v19, v17
	v_fmac_f32_e32 v18, 0x32a5705f, v13
	v_sub_f32_e32 v17, v17, v19
	v_add_f32_e32 v17, v17, v18
	v_exp_f32_e32 v17, v17
	v_cvt_i32_f32_e32 v18, v19
	v_cmp_ngt_f32_e32 vcc, s24, v13
	v_ldexp_f32 v17, v17, v18
	v_cndmask_b32_e32 v17, 0, v17, vcc
	v_cmp_nlt_f32_e32 vcc, s22, v13
	v_cndmask_b32_e32 v13, v9, v17, vcc
	v_fma_f32 v14, v13, v14, v13
	v_cmp_class_f32_e64 vcc, v13, s20
	v_cndmask_b32_e32 v13, v14, v13, vcc
	v_trunc_f32_e32 v14, v15
	v_cmp_eq_f32_e32 vcc, v14, v15
	v_mul_f32_e32 v14, 0.5, v15
	v_trunc_f32_e32 v17, v14
	v_cmp_neq_f32_e64 s[0:1], v17, v14
	s_and_b64 s[0:1], vcc, s[0:1]
	v_cndmask_b32_e64 v14, 1.0, v16, s[0:1]
	v_bfi_b32 v13, s25, v13, v14
	v_cndmask_b32_e32 v14, v10, v13, vcc
	v_cndmask_b32_e64 v13, v13, v14, s[2:3]
	v_cmp_neq_f32_e64 s[2:3], v15, |v15|
	s_xor_b64 s[2:3], s[2:3], s[4:5]
	v_cndmask_b32_e64 v14, v9, 0, s[2:3]
	v_cmp_neq_f32_e64 s[2:3], |v16|, 1.0
	v_cmp_class_f32_e64 vcc, v15, s20
	v_cndmask_b32_e64 v14, 1.0, v14, s[2:3]
	v_cndmask_b32_e32 v13, v13, v14, vcc
	v_cmp_eq_f32_e32 vcc, 0, v16
	v_cmp_gt_f32_e64 s[4:5], 0, v15
	s_xor_b64 s[4:5], s[4:5], vcc
	v_cmp_class_f32_e64 s[2:3], v16, s20
	v_cndmask_b32_e64 v14, v9, 0, s[4:5]
	v_cndmask_b32_e64 v17, 0, v16, s[0:1]
	s_or_b64 s[2:3], vcc, s[2:3]
	v_bfi_b32 v14, s25, v14, v17
	v_cndmask_b32_e64 v13, v13, v14, s[2:3]
	v_cmp_o_f32_e32 vcc, v16, v15
	v_cndmask_b32_e32 v13, v10, v13, vcc
	v_cvt_i32_f32_e32 v15, v13
	v_add_co_u32_e32 v13, vcc, s10, v0
	v_addc_co_u32_e32 v14, vcc, v11, v1, vcc
	v_add_co_u32_e32 v0, vcc, s17, v0
	v_addc_co_u32_e32 v1, vcc, v1, v12, vcc
	v_subrev_co_u32_e32 v2, vcc, s17, v2
	v_subb_co_u32_e32 v3, vcc, v3, v12, vcc
	v_cmp_le_i64_e32 vcc, s[12:13], v[0:1]
	global_store_byte v[13:14], v15, off
	s_or_b64 s[14:15], vcc, s[14:15]
	s_andn2_b64 exec, exec, s[14:15]
	s_cbranch_execz .LBB23_7
.LBB23_3:                               ; =>This Inner Loop Header: Depth=1
	v_cmp_le_i64_e32 vcc, s[8:9], v[0:1]
                                        ; implicit-def: $vgpr13
	s_and_saveexec_b64 s[0:1], vcc
	s_xor_b64 s[0:1], exec, s[0:1]
	s_cbranch_execz .LBB23_5
; %bb.4:                                ;   in Loop: Header=BB23_3 Depth=1
	v_xor_b32_e32 v14, v2, v3
	v_ffbh_i32_e32 v13, v3
	v_ashrrev_i32_e32 v14, 31, v14
	v_add_u32_e32 v13, -1, v13
	v_add_u32_e32 v14, 32, v14
	v_min_u32_e32 v15, v13, v14
	v_lshlrev_b64 v[13:14], v15, v[2:3]
	v_min_u32_e32 v13, 1, v13
	v_or_b32_e32 v13, v14, v13
	v_cvt_f32_i32_e32 v13, v13
	v_sub_u32_e32 v14, 32, v15
	v_ldexp_f32 v13, v13, v14
	v_fma_f32 v13, -s16, v13, v4
.LBB23_5:                               ;   in Loop: Header=BB23_3 Depth=1
	s_andn2_saveexec_b64 s[0:1], s[0:1]
	s_cbranch_execz .LBB23_2
; %bb.6:                                ;   in Loop: Header=BB23_3 Depth=1
	v_ffbh_u32_e32 v13, v1
	v_min_u32_e32 v15, 32, v13
	v_lshlrev_b64 v[13:14], v15, v[0:1]
	v_min_u32_e32 v13, 1, v13
	v_or_b32_e32 v13, v14, v13
	v_cvt_f32_u32_e32 v13, v13
	v_sub_u32_e32 v14, 32, v15
	v_ldexp_f32 v13, v13, v14
	v_fma_f32 v13, s16, v13, v5
	s_branch .LBB23_2
.LBB23_7:
	s_endpgm
	.section	.rodata,"a",@progbits
	.p2align	6, 0x0
	.amdhsa_kernel _ZN12_GLOBAL__N_141elementwise_kernel_with_index_grid_strideIlZZZN2at6native17logspace_cuda_outERKN3c106ScalarES6_ldRNS1_6TensorEENKUlvE_clEvENKUlvE_clEvEUllE_EEvT_T0_PN15function_traitsISD_E11result_typeE
		.amdhsa_group_segment_fixed_size 0
		.amdhsa_private_segment_fixed_size 0
		.amdhsa_kernarg_size 304
		.amdhsa_user_sgpr_count 6
		.amdhsa_user_sgpr_private_segment_buffer 1
		.amdhsa_user_sgpr_dispatch_ptr 0
		.amdhsa_user_sgpr_queue_ptr 0
		.amdhsa_user_sgpr_kernarg_segment_ptr 1
		.amdhsa_user_sgpr_dispatch_id 0
		.amdhsa_user_sgpr_flat_scratch_init 0
		.amdhsa_user_sgpr_private_segment_size 0
		.amdhsa_uses_dynamic_stack 0
		.amdhsa_system_sgpr_private_segment_wavefront_offset 0
		.amdhsa_system_sgpr_workgroup_id_x 1
		.amdhsa_system_sgpr_workgroup_id_y 0
		.amdhsa_system_sgpr_workgroup_id_z 0
		.amdhsa_system_sgpr_workgroup_info 0
		.amdhsa_system_vgpr_workitem_id 0
		.amdhsa_next_free_vgpr 23
		.amdhsa_next_free_sgpr 26
		.amdhsa_reserve_vcc 1
		.amdhsa_reserve_flat_scratch 0
		.amdhsa_float_round_mode_32 0
		.amdhsa_float_round_mode_16_64 0
		.amdhsa_float_denorm_mode_32 3
		.amdhsa_float_denorm_mode_16_64 3
		.amdhsa_dx10_clamp 1
		.amdhsa_ieee_mode 1
		.amdhsa_fp16_overflow 0
		.amdhsa_exception_fp_ieee_invalid_op 0
		.amdhsa_exception_fp_denorm_src 0
		.amdhsa_exception_fp_ieee_div_zero 0
		.amdhsa_exception_fp_ieee_overflow 0
		.amdhsa_exception_fp_ieee_underflow 0
		.amdhsa_exception_fp_ieee_inexact 0
		.amdhsa_exception_int_div_zero 0
	.end_amdhsa_kernel
	.section	.text._ZN12_GLOBAL__N_141elementwise_kernel_with_index_grid_strideIlZZZN2at6native17logspace_cuda_outERKN3c106ScalarES6_ldRNS1_6TensorEENKUlvE_clEvENKUlvE_clEvEUllE_EEvT_T0_PN15function_traitsISD_E11result_typeE,"axG",@progbits,_ZN12_GLOBAL__N_141elementwise_kernel_with_index_grid_strideIlZZZN2at6native17logspace_cuda_outERKN3c106ScalarES6_ldRNS1_6TensorEENKUlvE_clEvENKUlvE_clEvEUllE_EEvT_T0_PN15function_traitsISD_E11result_typeE,comdat
.Lfunc_end23:
	.size	_ZN12_GLOBAL__N_141elementwise_kernel_with_index_grid_strideIlZZZN2at6native17logspace_cuda_outERKN3c106ScalarES6_ldRNS1_6TensorEENKUlvE_clEvENKUlvE_clEvEUllE_EEvT_T0_PN15function_traitsISD_E11result_typeE, .Lfunc_end23-_ZN12_GLOBAL__N_141elementwise_kernel_with_index_grid_strideIlZZZN2at6native17logspace_cuda_outERKN3c106ScalarES6_ldRNS1_6TensorEENKUlvE_clEvENKUlvE_clEvEUllE_EEvT_T0_PN15function_traitsISD_E11result_typeE
                                        ; -- End function
	.set _ZN12_GLOBAL__N_141elementwise_kernel_with_index_grid_strideIlZZZN2at6native17logspace_cuda_outERKN3c106ScalarES6_ldRNS1_6TensorEENKUlvE_clEvENKUlvE_clEvEUllE_EEvT_T0_PN15function_traitsISD_E11result_typeE.num_vgpr, 23
	.set _ZN12_GLOBAL__N_141elementwise_kernel_with_index_grid_strideIlZZZN2at6native17logspace_cuda_outERKN3c106ScalarES6_ldRNS1_6TensorEENKUlvE_clEvENKUlvE_clEvEUllE_EEvT_T0_PN15function_traitsISD_E11result_typeE.num_agpr, 0
	.set _ZN12_GLOBAL__N_141elementwise_kernel_with_index_grid_strideIlZZZN2at6native17logspace_cuda_outERKN3c106ScalarES6_ldRNS1_6TensorEENKUlvE_clEvENKUlvE_clEvEUllE_EEvT_T0_PN15function_traitsISD_E11result_typeE.numbered_sgpr, 26
	.set _ZN12_GLOBAL__N_141elementwise_kernel_with_index_grid_strideIlZZZN2at6native17logspace_cuda_outERKN3c106ScalarES6_ldRNS1_6TensorEENKUlvE_clEvENKUlvE_clEvEUllE_EEvT_T0_PN15function_traitsISD_E11result_typeE.num_named_barrier, 0
	.set _ZN12_GLOBAL__N_141elementwise_kernel_with_index_grid_strideIlZZZN2at6native17logspace_cuda_outERKN3c106ScalarES6_ldRNS1_6TensorEENKUlvE_clEvENKUlvE_clEvEUllE_EEvT_T0_PN15function_traitsISD_E11result_typeE.private_seg_size, 0
	.set _ZN12_GLOBAL__N_141elementwise_kernel_with_index_grid_strideIlZZZN2at6native17logspace_cuda_outERKN3c106ScalarES6_ldRNS1_6TensorEENKUlvE_clEvENKUlvE_clEvEUllE_EEvT_T0_PN15function_traitsISD_E11result_typeE.uses_vcc, 1
	.set _ZN12_GLOBAL__N_141elementwise_kernel_with_index_grid_strideIlZZZN2at6native17logspace_cuda_outERKN3c106ScalarES6_ldRNS1_6TensorEENKUlvE_clEvENKUlvE_clEvEUllE_EEvT_T0_PN15function_traitsISD_E11result_typeE.uses_flat_scratch, 0
	.set _ZN12_GLOBAL__N_141elementwise_kernel_with_index_grid_strideIlZZZN2at6native17logspace_cuda_outERKN3c106ScalarES6_ldRNS1_6TensorEENKUlvE_clEvENKUlvE_clEvEUllE_EEvT_T0_PN15function_traitsISD_E11result_typeE.has_dyn_sized_stack, 0
	.set _ZN12_GLOBAL__N_141elementwise_kernel_with_index_grid_strideIlZZZN2at6native17logspace_cuda_outERKN3c106ScalarES6_ldRNS1_6TensorEENKUlvE_clEvENKUlvE_clEvEUllE_EEvT_T0_PN15function_traitsISD_E11result_typeE.has_recursion, 0
	.set _ZN12_GLOBAL__N_141elementwise_kernel_with_index_grid_strideIlZZZN2at6native17logspace_cuda_outERKN3c106ScalarES6_ldRNS1_6TensorEENKUlvE_clEvENKUlvE_clEvEUllE_EEvT_T0_PN15function_traitsISD_E11result_typeE.has_indirect_call, 0
	.section	.AMDGPU.csdata,"",@progbits
; Kernel info:
; codeLenInByte = 1300
; TotalNumSgprs: 30
; NumVgprs: 23
; ScratchSize: 0
; MemoryBound: 0
; FloatMode: 240
; IeeeMode: 1
; LDSByteSize: 0 bytes/workgroup (compile time only)
; SGPRBlocks: 3
; VGPRBlocks: 5
; NumSGPRsForWavesPerEU: 30
; NumVGPRsForWavesPerEU: 23
; Occupancy: 10
; WaveLimiterHint : 0
; COMPUTE_PGM_RSRC2:SCRATCH_EN: 0
; COMPUTE_PGM_RSRC2:USER_SGPR: 6
; COMPUTE_PGM_RSRC2:TRAP_HANDLER: 0
; COMPUTE_PGM_RSRC2:TGID_X_EN: 1
; COMPUTE_PGM_RSRC2:TGID_Y_EN: 0
; COMPUTE_PGM_RSRC2:TGID_Z_EN: 0
; COMPUTE_PGM_RSRC2:TIDIG_COMP_CNT: 0
	.section	.text._ZN12_GLOBAL__N_141elementwise_kernel_with_index_grid_strideIiZZZN2at6native17logspace_cuda_outERKN3c106ScalarES6_ldRNS1_6TensorEENKUlvE_clEvENKUlvE0_clEvEUllE_EEvT_T0_PN15function_traitsISD_E11result_typeE,"axG",@progbits,_ZN12_GLOBAL__N_141elementwise_kernel_with_index_grid_strideIiZZZN2at6native17logspace_cuda_outERKN3c106ScalarES6_ldRNS1_6TensorEENKUlvE_clEvENKUlvE0_clEvEUllE_EEvT_T0_PN15function_traitsISD_E11result_typeE,comdat
	.globl	_ZN12_GLOBAL__N_141elementwise_kernel_with_index_grid_strideIiZZZN2at6native17logspace_cuda_outERKN3c106ScalarES6_ldRNS1_6TensorEENKUlvE_clEvENKUlvE0_clEvEUllE_EEvT_T0_PN15function_traitsISD_E11result_typeE ; -- Begin function _ZN12_GLOBAL__N_141elementwise_kernel_with_index_grid_strideIiZZZN2at6native17logspace_cuda_outERKN3c106ScalarES6_ldRNS1_6TensorEENKUlvE_clEvENKUlvE0_clEvEUllE_EEvT_T0_PN15function_traitsISD_E11result_typeE
	.p2align	8
	.type	_ZN12_GLOBAL__N_141elementwise_kernel_with_index_grid_strideIiZZZN2at6native17logspace_cuda_outERKN3c106ScalarES6_ldRNS1_6TensorEENKUlvE_clEvENKUlvE0_clEvEUllE_EEvT_T0_PN15function_traitsISD_E11result_typeE,@function
_ZN12_GLOBAL__N_141elementwise_kernel_with_index_grid_strideIiZZZN2at6native17logspace_cuda_outERKN3c106ScalarES6_ldRNS1_6TensorEENKUlvE_clEvENKUlvE0_clEvEUllE_EEvT_T0_PN15function_traitsISD_E11result_typeE: ; @_ZN12_GLOBAL__N_141elementwise_kernel_with_index_grid_strideIiZZZN2at6native17logspace_cuda_outERKN3c106ScalarES6_ldRNS1_6TensorEENKUlvE_clEvENKUlvE0_clEvEUllE_EEvT_T0_PN15function_traitsISD_E11result_typeE
; %bb.0:
	s_load_dword s2, s[4:5], 0x3c
	s_load_dword s14, s[4:5], 0x0
	s_add_u32 s0, s4, 48
	s_addc_u32 s1, s5, 0
	s_waitcnt lgkmcnt(0)
	s_and_b32 s2, s2, 0xffff
	s_mul_i32 s6, s6, s2
	v_add_u32_e32 v0, s6, v0
	v_cmp_gt_i32_e32 vcc, s14, v0
	s_and_saveexec_b64 s[6:7], vcc
	s_cbranch_execz .LBB24_7
; %bb.1:
	s_load_dword s3, s[0:1], 0x0
	s_load_dwordx4 s[20:23], s[4:5], 0x8
	s_load_dword s15, s[4:5], 0x18
	s_load_dwordx4 s[8:11], s[4:5], 0x20
	v_ashrrev_i32_e32 v1, 31, v0
	s_waitcnt lgkmcnt(0)
	s_mul_i32 s16, s3, s2
	s_and_b32 s0, s20, 0xffff
	s_sext_i32_i16 s0, s0
	s_bfe_i32 s1, s20, 0x80000
	s_ashr_i32 s0, s0, 8
	v_cvt_f32_i32_e32 v4, s0
	s_sext_i32_i16 s0, s1
	v_cvt_f32_i32_e32 v5, s0
	v_not_b32_e32 v2, v0
	v_not_b32_e32 v3, v1
	v_mov_b32_e32 v6, s23
	v_add_co_u32_e32 v2, vcc, s22, v2
	s_ashr_i32 s0, s16, 31
	v_cmp_eq_f32_e64 s[6:7], s21, 1.0
	v_addc_co_u32_e32 v3, vcc, v3, v6, vcc
	s_mov_b64 s[12:13], 0
	v_mov_b32_e32 v6, s21
	s_mov_b32 s17, 0x3f2aaaab
	v_mov_b32_e32 v7, 0x3ecccdef
	s_mov_b32 s18, 0x3f317218
	s_movk_i32 s19, 0x204
	s_mov_b32 s20, 0x7f800000
	s_mov_b32 s21, 0x42b17218
	v_mov_b32_e32 v8, 0x37000000
	s_mov_b32 s22, 0x3fb8aa3b
	s_mov_b32 s23, 0xc2ce8ed0
	v_mov_b32_e32 v9, 0x7f800000
	s_brev_b32 s24, -2
	v_mov_b32_e32 v10, 0x7fc00000
	v_mov_b32_e32 v11, s11
	;; [unrolled: 1-line block ×3, first 2 shown]
	s_branch .LBB24_3
.LBB24_2:                               ;   in Loop: Header=BB24_3 Depth=1
	s_or_b64 exec, exec, s[0:1]
	v_cndmask_b32_e64 v15, v13, 1.0, s[6:7]
	v_cmp_neq_f32_e32 vcc, 0, v15
	v_cndmask_b32_e32 v16, 1.0, v6, vcc
	v_frexp_mant_f32_e64 v13, |v16|
	v_cmp_gt_f32_e32 vcc, s17, v13
	v_cndmask_b32_e64 v14, 1.0, 2.0, vcc
	v_mul_f32_e32 v13, v13, v14
	v_add_f32_e32 v17, 1.0, v13
	v_add_f32_e32 v18, -1.0, v17
	v_add_f32_e32 v14, -1.0, v13
	v_sub_f32_e32 v13, v13, v18
	v_rcp_f32_e32 v18, v17
	v_cmp_gt_f32_e64 s[2:3], 0, v16
	v_cmp_lt_f32_e64 s[4:5], |v16|, 1.0
	v_mul_f32_e32 v19, v14, v18
	v_mul_f32_e32 v20, v17, v19
	v_fma_f32 v17, v19, v17, -v20
	v_fmac_f32_e32 v17, v19, v13
	v_add_f32_e32 v13, v20, v17
	v_sub_f32_e32 v21, v14, v13
	v_sub_f32_e32 v20, v13, v20
	;; [unrolled: 1-line block ×5, first 2 shown]
	v_add_f32_e32 v13, v14, v13
	v_add_f32_e32 v13, v21, v13
	v_mul_f32_e32 v13, v18, v13
	v_add_f32_e32 v17, v19, v13
	v_sub_f32_e32 v14, v17, v19
	v_sub_f32_e32 v18, v13, v14
	v_mul_f32_e32 v13, v17, v17
	v_fma_f32 v14, v17, v17, -v13
	v_add_f32_e32 v19, v18, v18
	v_fmac_f32_e32 v14, v17, v19
	v_add_f32_e32 v19, v13, v14
	v_sub_f32_e32 v13, v19, v13
	v_sub_f32_e32 v13, v14, v13
	v_mul_f32_e32 v14, v17, v19
	v_fma_f32 v21, v19, v17, -v14
	v_fmac_f32_e32 v21, v19, v18
	v_mov_b32_e32 v20, 0x3e91f4c4
	v_fmac_f32_e32 v21, v13, v17
	v_fmac_f32_e32 v20, 0x3e76c4e1, v19
	v_add_f32_e32 v22, v14, v21
	v_fma_f32 v20, v19, v20, v7
	v_sub_f32_e32 v14, v22, v14
	v_sub_f32_e32 v14, v21, v14
	v_mul_f32_e32 v21, v19, v20
	v_fma_f32 v19, v19, v20, -v21
	v_fmac_f32_e32 v19, v13, v20
	v_add_f32_e32 v13, v21, v19
	v_add_f32_e32 v20, 0x3f2aaaaa, v13
	v_sub_f32_e32 v21, v13, v21
	v_sub_f32_e32 v19, v19, v21
	v_add_f32_e32 v21, 0xbf2aaaaa, v20
	v_add_f32_e32 v19, 0x31739010, v19
	v_sub_f32_e32 v13, v13, v21
	v_add_f32_e32 v13, v19, v13
	v_add_f32_e32 v19, v20, v13
	v_sub_f32_e32 v20, v20, v19
	v_add_f32_e32 v13, v13, v20
	v_mul_f32_e32 v20, v22, v19
	v_fma_f32 v21, v22, v19, -v20
	v_fmac_f32_e32 v21, v22, v13
	v_fmac_f32_e32 v21, v14, v19
	v_cvt_f64_f32_e64 v[13:14], |v16|
	v_ldexp_f32 v17, v17, 1
	v_frexp_exp_i32_f64_e32 v13, v[13:14]
	v_subbrev_co_u32_e32 v13, vcc, 0, v13, vcc
	v_cvt_f32_i32_e32 v13, v13
	v_mul_f32_e32 v14, 0x3f317218, v13
	v_fma_f32 v19, v13, s18, -v14
	v_fmac_f32_e32 v19, 0xb102e308, v13
	v_ldexp_f32 v13, v18, 1
	v_add_f32_e32 v18, v14, v19
	v_sub_f32_e32 v14, v18, v14
	v_sub_f32_e32 v14, v19, v14
	v_add_f32_e32 v19, v20, v21
	v_sub_f32_e32 v20, v19, v20
	v_sub_f32_e32 v20, v21, v20
	;; [unrolled: 3-line block ×3, first 2 shown]
	v_add_f32_e32 v13, v13, v20
	v_add_f32_e32 v13, v13, v17
	;; [unrolled: 1-line block ×3, first 2 shown]
	v_sub_f32_e32 v19, v17, v21
	v_sub_f32_e32 v13, v13, v19
	v_add_f32_e32 v19, v18, v17
	v_sub_f32_e32 v20, v19, v18
	v_sub_f32_e32 v21, v19, v20
	;; [unrolled: 1-line block ×4, first 2 shown]
	v_add_f32_e32 v17, v17, v18
	v_add_f32_e32 v18, v14, v13
	v_sub_f32_e32 v20, v18, v14
	v_sub_f32_e32 v21, v18, v20
	;; [unrolled: 1-line block ×4, first 2 shown]
	v_add_f32_e32 v13, v13, v14
	v_add_f32_e32 v14, v18, v17
	;; [unrolled: 1-line block ×3, first 2 shown]
	v_sub_f32_e32 v18, v17, v19
	v_sub_f32_e32 v14, v14, v18
	v_add_f32_e32 v13, v13, v14
	v_add_f32_e32 v14, v17, v13
	v_sub_f32_e32 v17, v14, v17
	v_sub_f32_e32 v13, v13, v17
	v_mul_f32_e32 v17, v15, v14
	v_fma_f32 v14, v15, v14, -v17
	v_fmac_f32_e32 v14, v15, v13
	v_add_f32_e32 v13, v17, v14
	v_cmp_class_f32_e64 vcc, v17, s19
	v_sub_f32_e32 v18, v13, v17
	v_cndmask_b32_e32 v13, v13, v17, vcc
	v_sub_f32_e32 v14, v14, v18
	v_cmp_neq_f32_e64 vcc, |v13|, s20
	v_cndmask_b32_e32 v14, 0, v14, vcc
	v_cmp_eq_f32_e32 vcc, s21, v13
	v_cndmask_b32_e32 v17, 0, v8, vcc
	v_sub_f32_e32 v13, v13, v17
	v_add_f32_e32 v14, v17, v14
	v_mul_f32_e32 v17, 0x3fb8aa3b, v13
	v_fma_f32 v18, v13, s22, -v17
	v_rndne_f32_e32 v19, v17
	v_fmac_f32_e32 v18, 0x32a5705f, v13
	v_sub_f32_e32 v17, v17, v19
	v_add_f32_e32 v17, v17, v18
	v_exp_f32_e32 v17, v17
	v_cvt_i32_f32_e32 v18, v19
	v_cmp_ngt_f32_e32 vcc, s23, v13
	v_ldexp_f32 v17, v17, v18
	v_cndmask_b32_e32 v17, 0, v17, vcc
	v_cmp_nlt_f32_e32 vcc, s21, v13
	v_cndmask_b32_e32 v13, v9, v17, vcc
	v_fma_f32 v14, v13, v14, v13
	v_cmp_class_f32_e64 vcc, v13, s19
	v_cndmask_b32_e32 v13, v14, v13, vcc
	v_trunc_f32_e32 v14, v15
	v_cmp_eq_f32_e32 vcc, v14, v15
	v_mul_f32_e32 v14, 0.5, v15
	v_trunc_f32_e32 v17, v14
	v_cmp_neq_f32_e64 s[0:1], v17, v14
	s_and_b64 s[0:1], vcc, s[0:1]
	v_cndmask_b32_e64 v14, 1.0, v16, s[0:1]
	v_bfi_b32 v13, s24, v13, v14
	v_cndmask_b32_e32 v14, v10, v13, vcc
	v_cndmask_b32_e64 v13, v13, v14, s[2:3]
	v_cmp_neq_f32_e64 s[2:3], v15, |v15|
	s_xor_b64 s[2:3], s[2:3], s[4:5]
	v_cndmask_b32_e64 v14, v9, 0, s[2:3]
	v_cmp_neq_f32_e64 s[2:3], |v16|, 1.0
	v_cmp_class_f32_e64 vcc, v15, s19
	v_cndmask_b32_e64 v14, 1.0, v14, s[2:3]
	v_cndmask_b32_e32 v13, v13, v14, vcc
	v_cmp_eq_f32_e32 vcc, 0, v16
	v_cmp_gt_f32_e64 s[4:5], 0, v15
	s_xor_b64 s[4:5], s[4:5], vcc
	v_cmp_class_f32_e64 s[2:3], v16, s19
	v_cndmask_b32_e64 v14, v9, 0, s[4:5]
	v_cndmask_b32_e64 v17, 0, v16, s[0:1]
	s_or_b64 s[2:3], vcc, s[2:3]
	v_bfi_b32 v14, s24, v14, v17
	v_cndmask_b32_e64 v13, v13, v14, s[2:3]
	v_cmp_o_f32_e32 vcc, v16, v15
	v_cndmask_b32_e32 v13, v10, v13, vcc
	v_cvt_i32_f32_e32 v15, v13
	v_add_co_u32_e32 v13, vcc, s10, v0
	v_addc_co_u32_e32 v14, vcc, v11, v1, vcc
	v_add_co_u32_e32 v0, vcc, s16, v0
	v_addc_co_u32_e32 v1, vcc, v1, v12, vcc
	v_subrev_co_u32_e32 v2, vcc, s16, v2
	v_subb_co_u32_e32 v3, vcc, v3, v12, vcc
	v_cmp_le_i32_e32 vcc, s14, v0
	s_or_b64 s[12:13], vcc, s[12:13]
	global_store_byte v[13:14], v15, off
	s_andn2_b64 exec, exec, s[12:13]
	s_cbranch_execz .LBB24_7
.LBB24_3:                               ; =>This Inner Loop Header: Depth=1
	v_cmp_le_i64_e32 vcc, s[8:9], v[0:1]
                                        ; implicit-def: $vgpr13
	s_and_saveexec_b64 s[0:1], vcc
	s_xor_b64 s[0:1], exec, s[0:1]
	s_cbranch_execz .LBB24_5
; %bb.4:                                ;   in Loop: Header=BB24_3 Depth=1
	v_xor_b32_e32 v14, v2, v3
	v_ffbh_i32_e32 v13, v3
	v_ashrrev_i32_e32 v14, 31, v14
	v_add_u32_e32 v13, -1, v13
	v_add_u32_e32 v14, 32, v14
	v_min_u32_e32 v15, v13, v14
	v_lshlrev_b64 v[13:14], v15, v[2:3]
	v_min_u32_e32 v13, 1, v13
	v_or_b32_e32 v13, v14, v13
	v_cvt_f32_i32_e32 v13, v13
	v_sub_u32_e32 v14, 32, v15
	v_ldexp_f32 v13, v13, v14
	v_fma_f32 v13, -s15, v13, v4
.LBB24_5:                               ;   in Loop: Header=BB24_3 Depth=1
	s_andn2_saveexec_b64 s[0:1], s[0:1]
	s_cbranch_execz .LBB24_2
; %bb.6:                                ;   in Loop: Header=BB24_3 Depth=1
	v_cvt_f32_i32_e32 v13, v0
	v_fma_f32 v13, s15, v13, v5
	s_branch .LBB24_2
.LBB24_7:
	s_endpgm
	.section	.rodata,"a",@progbits
	.p2align	6, 0x0
	.amdhsa_kernel _ZN12_GLOBAL__N_141elementwise_kernel_with_index_grid_strideIiZZZN2at6native17logspace_cuda_outERKN3c106ScalarES6_ldRNS1_6TensorEENKUlvE_clEvENKUlvE0_clEvEUllE_EEvT_T0_PN15function_traitsISD_E11result_typeE
		.amdhsa_group_segment_fixed_size 0
		.amdhsa_private_segment_fixed_size 0
		.amdhsa_kernarg_size 304
		.amdhsa_user_sgpr_count 6
		.amdhsa_user_sgpr_private_segment_buffer 1
		.amdhsa_user_sgpr_dispatch_ptr 0
		.amdhsa_user_sgpr_queue_ptr 0
		.amdhsa_user_sgpr_kernarg_segment_ptr 1
		.amdhsa_user_sgpr_dispatch_id 0
		.amdhsa_user_sgpr_flat_scratch_init 0
		.amdhsa_user_sgpr_private_segment_size 0
		.amdhsa_uses_dynamic_stack 0
		.amdhsa_system_sgpr_private_segment_wavefront_offset 0
		.amdhsa_system_sgpr_workgroup_id_x 1
		.amdhsa_system_sgpr_workgroup_id_y 0
		.amdhsa_system_sgpr_workgroup_id_z 0
		.amdhsa_system_sgpr_workgroup_info 0
		.amdhsa_system_vgpr_workitem_id 0
		.amdhsa_next_free_vgpr 23
		.amdhsa_next_free_sgpr 25
		.amdhsa_reserve_vcc 1
		.amdhsa_reserve_flat_scratch 0
		.amdhsa_float_round_mode_32 0
		.amdhsa_float_round_mode_16_64 0
		.amdhsa_float_denorm_mode_32 3
		.amdhsa_float_denorm_mode_16_64 3
		.amdhsa_dx10_clamp 1
		.amdhsa_ieee_mode 1
		.amdhsa_fp16_overflow 0
		.amdhsa_exception_fp_ieee_invalid_op 0
		.amdhsa_exception_fp_denorm_src 0
		.amdhsa_exception_fp_ieee_div_zero 0
		.amdhsa_exception_fp_ieee_overflow 0
		.amdhsa_exception_fp_ieee_underflow 0
		.amdhsa_exception_fp_ieee_inexact 0
		.amdhsa_exception_int_div_zero 0
	.end_amdhsa_kernel
	.section	.text._ZN12_GLOBAL__N_141elementwise_kernel_with_index_grid_strideIiZZZN2at6native17logspace_cuda_outERKN3c106ScalarES6_ldRNS1_6TensorEENKUlvE_clEvENKUlvE0_clEvEUllE_EEvT_T0_PN15function_traitsISD_E11result_typeE,"axG",@progbits,_ZN12_GLOBAL__N_141elementwise_kernel_with_index_grid_strideIiZZZN2at6native17logspace_cuda_outERKN3c106ScalarES6_ldRNS1_6TensorEENKUlvE_clEvENKUlvE0_clEvEUllE_EEvT_T0_PN15function_traitsISD_E11result_typeE,comdat
.Lfunc_end24:
	.size	_ZN12_GLOBAL__N_141elementwise_kernel_with_index_grid_strideIiZZZN2at6native17logspace_cuda_outERKN3c106ScalarES6_ldRNS1_6TensorEENKUlvE_clEvENKUlvE0_clEvEUllE_EEvT_T0_PN15function_traitsISD_E11result_typeE, .Lfunc_end24-_ZN12_GLOBAL__N_141elementwise_kernel_with_index_grid_strideIiZZZN2at6native17logspace_cuda_outERKN3c106ScalarES6_ldRNS1_6TensorEENKUlvE_clEvENKUlvE0_clEvEUllE_EEvT_T0_PN15function_traitsISD_E11result_typeE
                                        ; -- End function
	.set _ZN12_GLOBAL__N_141elementwise_kernel_with_index_grid_strideIiZZZN2at6native17logspace_cuda_outERKN3c106ScalarES6_ldRNS1_6TensorEENKUlvE_clEvENKUlvE0_clEvEUllE_EEvT_T0_PN15function_traitsISD_E11result_typeE.num_vgpr, 23
	.set _ZN12_GLOBAL__N_141elementwise_kernel_with_index_grid_strideIiZZZN2at6native17logspace_cuda_outERKN3c106ScalarES6_ldRNS1_6TensorEENKUlvE_clEvENKUlvE0_clEvEUllE_EEvT_T0_PN15function_traitsISD_E11result_typeE.num_agpr, 0
	.set _ZN12_GLOBAL__N_141elementwise_kernel_with_index_grid_strideIiZZZN2at6native17logspace_cuda_outERKN3c106ScalarES6_ldRNS1_6TensorEENKUlvE_clEvENKUlvE0_clEvEUllE_EEvT_T0_PN15function_traitsISD_E11result_typeE.numbered_sgpr, 25
	.set _ZN12_GLOBAL__N_141elementwise_kernel_with_index_grid_strideIiZZZN2at6native17logspace_cuda_outERKN3c106ScalarES6_ldRNS1_6TensorEENKUlvE_clEvENKUlvE0_clEvEUllE_EEvT_T0_PN15function_traitsISD_E11result_typeE.num_named_barrier, 0
	.set _ZN12_GLOBAL__N_141elementwise_kernel_with_index_grid_strideIiZZZN2at6native17logspace_cuda_outERKN3c106ScalarES6_ldRNS1_6TensorEENKUlvE_clEvENKUlvE0_clEvEUllE_EEvT_T0_PN15function_traitsISD_E11result_typeE.private_seg_size, 0
	.set _ZN12_GLOBAL__N_141elementwise_kernel_with_index_grid_strideIiZZZN2at6native17logspace_cuda_outERKN3c106ScalarES6_ldRNS1_6TensorEENKUlvE_clEvENKUlvE0_clEvEUllE_EEvT_T0_PN15function_traitsISD_E11result_typeE.uses_vcc, 1
	.set _ZN12_GLOBAL__N_141elementwise_kernel_with_index_grid_strideIiZZZN2at6native17logspace_cuda_outERKN3c106ScalarES6_ldRNS1_6TensorEENKUlvE_clEvENKUlvE0_clEvEUllE_EEvT_T0_PN15function_traitsISD_E11result_typeE.uses_flat_scratch, 0
	.set _ZN12_GLOBAL__N_141elementwise_kernel_with_index_grid_strideIiZZZN2at6native17logspace_cuda_outERKN3c106ScalarES6_ldRNS1_6TensorEENKUlvE_clEvENKUlvE0_clEvEUllE_EEvT_T0_PN15function_traitsISD_E11result_typeE.has_dyn_sized_stack, 0
	.set _ZN12_GLOBAL__N_141elementwise_kernel_with_index_grid_strideIiZZZN2at6native17logspace_cuda_outERKN3c106ScalarES6_ldRNS1_6TensorEENKUlvE_clEvENKUlvE0_clEvEUllE_EEvT_T0_PN15function_traitsISD_E11result_typeE.has_recursion, 0
	.set _ZN12_GLOBAL__N_141elementwise_kernel_with_index_grid_strideIiZZZN2at6native17logspace_cuda_outERKN3c106ScalarES6_ldRNS1_6TensorEENKUlvE_clEvENKUlvE0_clEvEUllE_EEvT_T0_PN15function_traitsISD_E11result_typeE.has_indirect_call, 0
	.section	.AMDGPU.csdata,"",@progbits
; Kernel info:
; codeLenInByte = 1288
; TotalNumSgprs: 29
; NumVgprs: 23
; ScratchSize: 0
; MemoryBound: 0
; FloatMode: 240
; IeeeMode: 1
; LDSByteSize: 0 bytes/workgroup (compile time only)
; SGPRBlocks: 3
; VGPRBlocks: 5
; NumSGPRsForWavesPerEU: 29
; NumVGPRsForWavesPerEU: 23
; Occupancy: 10
; WaveLimiterHint : 0
; COMPUTE_PGM_RSRC2:SCRATCH_EN: 0
; COMPUTE_PGM_RSRC2:USER_SGPR: 6
; COMPUTE_PGM_RSRC2:TRAP_HANDLER: 0
; COMPUTE_PGM_RSRC2:TGID_X_EN: 1
; COMPUTE_PGM_RSRC2:TGID_Y_EN: 0
; COMPUTE_PGM_RSRC2:TGID_Z_EN: 0
; COMPUTE_PGM_RSRC2:TIDIG_COMP_CNT: 0
	.section	.text._ZN12_GLOBAL__N_141elementwise_kernel_with_index_grid_strideIlZZZN2at6native17logspace_cuda_outERKN3c106ScalarES6_ldRNS1_6TensorEENKUlvE_clEvENKUlvE0_clEvEUllE_EEvT_T0_PN15function_traitsISD_E11result_typeE,"axG",@progbits,_ZN12_GLOBAL__N_141elementwise_kernel_with_index_grid_strideIlZZZN2at6native17logspace_cuda_outERKN3c106ScalarES6_ldRNS1_6TensorEENKUlvE_clEvENKUlvE0_clEvEUllE_EEvT_T0_PN15function_traitsISD_E11result_typeE,comdat
	.globl	_ZN12_GLOBAL__N_141elementwise_kernel_with_index_grid_strideIlZZZN2at6native17logspace_cuda_outERKN3c106ScalarES6_ldRNS1_6TensorEENKUlvE_clEvENKUlvE0_clEvEUllE_EEvT_T0_PN15function_traitsISD_E11result_typeE ; -- Begin function _ZN12_GLOBAL__N_141elementwise_kernel_with_index_grid_strideIlZZZN2at6native17logspace_cuda_outERKN3c106ScalarES6_ldRNS1_6TensorEENKUlvE_clEvENKUlvE0_clEvEUllE_EEvT_T0_PN15function_traitsISD_E11result_typeE
	.p2align	8
	.type	_ZN12_GLOBAL__N_141elementwise_kernel_with_index_grid_strideIlZZZN2at6native17logspace_cuda_outERKN3c106ScalarES6_ldRNS1_6TensorEENKUlvE_clEvENKUlvE0_clEvEUllE_EEvT_T0_PN15function_traitsISD_E11result_typeE,@function
_ZN12_GLOBAL__N_141elementwise_kernel_with_index_grid_strideIlZZZN2at6native17logspace_cuda_outERKN3c106ScalarES6_ldRNS1_6TensorEENKUlvE_clEvENKUlvE0_clEvEUllE_EEvT_T0_PN15function_traitsISD_E11result_typeE: ; @_ZN12_GLOBAL__N_141elementwise_kernel_with_index_grid_strideIlZZZN2at6native17logspace_cuda_outERKN3c106ScalarES6_ldRNS1_6TensorEENKUlvE_clEvENKUlvE0_clEvEUllE_EEvT_T0_PN15function_traitsISD_E11result_typeE
; %bb.0:
	s_load_dword s2, s[4:5], 0x3c
	s_load_dwordx2 s[12:13], s[4:5], 0x0
	s_add_u32 s0, s4, 48
	s_addc_u32 s1, s5, 0
	v_mov_b32_e32 v1, 0
	s_waitcnt lgkmcnt(0)
	s_and_b32 s2, s2, 0xffff
	v_mov_b32_e32 v2, s6
	v_mad_u64_u32 v[0:1], s[6:7], s2, v2, v[0:1]
	v_cmp_gt_i64_e32 vcc, s[12:13], v[0:1]
	s_and_saveexec_b64 s[6:7], vcc
	s_cbranch_execz .LBB25_7
; %bb.1:
	s_load_dword s3, s[0:1], 0x0
	s_load_dwordx4 s[20:23], s[4:5], 0x8
	s_load_dword s16, s[4:5], 0x18
	s_load_dwordx4 s[8:11], s[4:5], 0x20
	v_not_b32_e32 v2, v0
	s_waitcnt lgkmcnt(0)
	s_mul_hi_u32 s0, s2, s3
	s_and_b32 s1, s20, 0xffff
	s_sext_i32_i16 s1, s1
	s_mul_i32 s17, s2, s3
	s_bfe_i32 s2, s20, 0x80000
	s_ashr_i32 s1, s1, 8
	v_cvt_f32_i32_e32 v4, s1
	s_sext_i32_i16 s1, s2
	v_cvt_f32_i32_e32 v5, s1
	v_not_b32_e32 v3, v1
	v_mov_b32_e32 v6, s23
	v_add_co_u32_e32 v2, vcc, s22, v2
	v_cmp_eq_f32_e64 s[6:7], s21, 1.0
	v_addc_co_u32_e32 v3, vcc, v3, v6, vcc
	s_mov_b64 s[14:15], 0
	v_mov_b32_e32 v6, s21
	s_mov_b32 s18, 0x3f2aaaab
	v_mov_b32_e32 v7, 0x3ecccdef
	s_mov_b32 s19, 0x3f317218
	s_movk_i32 s20, 0x204
	s_mov_b32 s21, 0x7f800000
	s_mov_b32 s22, 0x42b17218
	v_mov_b32_e32 v8, 0x37000000
	s_mov_b32 s23, 0x3fb8aa3b
	s_mov_b32 s24, 0xc2ce8ed0
	v_mov_b32_e32 v9, 0x7f800000
	s_brev_b32 s25, -2
	v_mov_b32_e32 v10, 0x7fc00000
	v_mov_b32_e32 v11, s11
	;; [unrolled: 1-line block ×3, first 2 shown]
	s_branch .LBB25_3
.LBB25_2:                               ;   in Loop: Header=BB25_3 Depth=1
	s_or_b64 exec, exec, s[0:1]
	v_cndmask_b32_e64 v15, v13, 1.0, s[6:7]
	v_cmp_neq_f32_e32 vcc, 0, v15
	v_cndmask_b32_e32 v16, 1.0, v6, vcc
	v_frexp_mant_f32_e64 v13, |v16|
	v_cmp_gt_f32_e32 vcc, s18, v13
	v_cndmask_b32_e64 v14, 1.0, 2.0, vcc
	v_mul_f32_e32 v13, v13, v14
	v_add_f32_e32 v17, 1.0, v13
	v_add_f32_e32 v18, -1.0, v17
	v_add_f32_e32 v14, -1.0, v13
	v_sub_f32_e32 v13, v13, v18
	v_rcp_f32_e32 v18, v17
	v_cmp_gt_f32_e64 s[2:3], 0, v16
	v_cmp_lt_f32_e64 s[4:5], |v16|, 1.0
	v_mul_f32_e32 v19, v14, v18
	v_mul_f32_e32 v20, v17, v19
	v_fma_f32 v17, v19, v17, -v20
	v_fmac_f32_e32 v17, v19, v13
	v_add_f32_e32 v13, v20, v17
	v_sub_f32_e32 v21, v14, v13
	v_sub_f32_e32 v20, v13, v20
	;; [unrolled: 1-line block ×5, first 2 shown]
	v_add_f32_e32 v13, v14, v13
	v_add_f32_e32 v13, v21, v13
	v_mul_f32_e32 v13, v18, v13
	v_add_f32_e32 v17, v19, v13
	v_sub_f32_e32 v14, v17, v19
	v_sub_f32_e32 v18, v13, v14
	v_mul_f32_e32 v13, v17, v17
	v_fma_f32 v14, v17, v17, -v13
	v_add_f32_e32 v19, v18, v18
	v_fmac_f32_e32 v14, v17, v19
	v_add_f32_e32 v19, v13, v14
	v_sub_f32_e32 v13, v19, v13
	v_sub_f32_e32 v13, v14, v13
	v_mul_f32_e32 v14, v17, v19
	v_fma_f32 v21, v19, v17, -v14
	v_fmac_f32_e32 v21, v19, v18
	v_mov_b32_e32 v20, 0x3e91f4c4
	v_fmac_f32_e32 v21, v13, v17
	v_fmac_f32_e32 v20, 0x3e76c4e1, v19
	v_add_f32_e32 v22, v14, v21
	v_fma_f32 v20, v19, v20, v7
	v_sub_f32_e32 v14, v22, v14
	v_sub_f32_e32 v14, v21, v14
	v_mul_f32_e32 v21, v19, v20
	v_fma_f32 v19, v19, v20, -v21
	v_fmac_f32_e32 v19, v13, v20
	v_add_f32_e32 v13, v21, v19
	v_add_f32_e32 v20, 0x3f2aaaaa, v13
	v_sub_f32_e32 v21, v13, v21
	v_sub_f32_e32 v19, v19, v21
	v_add_f32_e32 v21, 0xbf2aaaaa, v20
	v_add_f32_e32 v19, 0x31739010, v19
	v_sub_f32_e32 v13, v13, v21
	v_add_f32_e32 v13, v19, v13
	v_add_f32_e32 v19, v20, v13
	v_sub_f32_e32 v20, v20, v19
	v_add_f32_e32 v13, v13, v20
	v_mul_f32_e32 v20, v22, v19
	v_fma_f32 v21, v22, v19, -v20
	v_fmac_f32_e32 v21, v22, v13
	v_fmac_f32_e32 v21, v14, v19
	v_cvt_f64_f32_e64 v[13:14], |v16|
	v_ldexp_f32 v17, v17, 1
	v_frexp_exp_i32_f64_e32 v13, v[13:14]
	v_subbrev_co_u32_e32 v13, vcc, 0, v13, vcc
	v_cvt_f32_i32_e32 v13, v13
	v_mul_f32_e32 v14, 0x3f317218, v13
	v_fma_f32 v19, v13, s19, -v14
	v_fmac_f32_e32 v19, 0xb102e308, v13
	v_ldexp_f32 v13, v18, 1
	v_add_f32_e32 v18, v14, v19
	v_sub_f32_e32 v14, v18, v14
	v_sub_f32_e32 v14, v19, v14
	v_add_f32_e32 v19, v20, v21
	v_sub_f32_e32 v20, v19, v20
	v_sub_f32_e32 v20, v21, v20
	v_add_f32_e32 v21, v17, v19
	v_sub_f32_e32 v17, v21, v17
	v_sub_f32_e32 v17, v19, v17
	v_add_f32_e32 v13, v13, v20
	v_add_f32_e32 v13, v13, v17
	;; [unrolled: 1-line block ×3, first 2 shown]
	v_sub_f32_e32 v19, v17, v21
	v_sub_f32_e32 v13, v13, v19
	v_add_f32_e32 v19, v18, v17
	v_sub_f32_e32 v20, v19, v18
	v_sub_f32_e32 v21, v19, v20
	;; [unrolled: 1-line block ×4, first 2 shown]
	v_add_f32_e32 v17, v17, v18
	v_add_f32_e32 v18, v14, v13
	v_sub_f32_e32 v20, v18, v14
	v_sub_f32_e32 v21, v18, v20
	;; [unrolled: 1-line block ×4, first 2 shown]
	v_add_f32_e32 v13, v13, v14
	v_add_f32_e32 v14, v18, v17
	;; [unrolled: 1-line block ×3, first 2 shown]
	v_sub_f32_e32 v18, v17, v19
	v_sub_f32_e32 v14, v14, v18
	v_add_f32_e32 v13, v13, v14
	v_add_f32_e32 v14, v17, v13
	v_sub_f32_e32 v17, v14, v17
	v_sub_f32_e32 v13, v13, v17
	v_mul_f32_e32 v17, v15, v14
	v_fma_f32 v14, v15, v14, -v17
	v_fmac_f32_e32 v14, v15, v13
	v_add_f32_e32 v13, v17, v14
	v_cmp_class_f32_e64 vcc, v17, s20
	v_sub_f32_e32 v18, v13, v17
	v_cndmask_b32_e32 v13, v13, v17, vcc
	v_sub_f32_e32 v14, v14, v18
	v_cmp_neq_f32_e64 vcc, |v13|, s21
	v_cndmask_b32_e32 v14, 0, v14, vcc
	v_cmp_eq_f32_e32 vcc, s22, v13
	v_cndmask_b32_e32 v17, 0, v8, vcc
	v_sub_f32_e32 v13, v13, v17
	v_add_f32_e32 v14, v17, v14
	v_mul_f32_e32 v17, 0x3fb8aa3b, v13
	v_fma_f32 v18, v13, s23, -v17
	v_rndne_f32_e32 v19, v17
	v_fmac_f32_e32 v18, 0x32a5705f, v13
	v_sub_f32_e32 v17, v17, v19
	v_add_f32_e32 v17, v17, v18
	v_exp_f32_e32 v17, v17
	v_cvt_i32_f32_e32 v18, v19
	v_cmp_ngt_f32_e32 vcc, s24, v13
	v_ldexp_f32 v17, v17, v18
	v_cndmask_b32_e32 v17, 0, v17, vcc
	v_cmp_nlt_f32_e32 vcc, s22, v13
	v_cndmask_b32_e32 v13, v9, v17, vcc
	v_fma_f32 v14, v13, v14, v13
	v_cmp_class_f32_e64 vcc, v13, s20
	v_cndmask_b32_e32 v13, v14, v13, vcc
	v_trunc_f32_e32 v14, v15
	v_cmp_eq_f32_e32 vcc, v14, v15
	v_mul_f32_e32 v14, 0.5, v15
	v_trunc_f32_e32 v17, v14
	v_cmp_neq_f32_e64 s[0:1], v17, v14
	s_and_b64 s[0:1], vcc, s[0:1]
	v_cndmask_b32_e64 v14, 1.0, v16, s[0:1]
	v_bfi_b32 v13, s25, v13, v14
	v_cndmask_b32_e32 v14, v10, v13, vcc
	v_cndmask_b32_e64 v13, v13, v14, s[2:3]
	v_cmp_neq_f32_e64 s[2:3], v15, |v15|
	s_xor_b64 s[2:3], s[2:3], s[4:5]
	v_cndmask_b32_e64 v14, v9, 0, s[2:3]
	v_cmp_neq_f32_e64 s[2:3], |v16|, 1.0
	v_cmp_class_f32_e64 vcc, v15, s20
	v_cndmask_b32_e64 v14, 1.0, v14, s[2:3]
	v_cndmask_b32_e32 v13, v13, v14, vcc
	v_cmp_eq_f32_e32 vcc, 0, v16
	v_cmp_gt_f32_e64 s[4:5], 0, v15
	s_xor_b64 s[4:5], s[4:5], vcc
	v_cmp_class_f32_e64 s[2:3], v16, s20
	v_cndmask_b32_e64 v14, v9, 0, s[4:5]
	v_cndmask_b32_e64 v17, 0, v16, s[0:1]
	s_or_b64 s[2:3], vcc, s[2:3]
	v_bfi_b32 v14, s25, v14, v17
	v_cndmask_b32_e64 v13, v13, v14, s[2:3]
	v_cmp_o_f32_e32 vcc, v16, v15
	v_cndmask_b32_e32 v13, v10, v13, vcc
	v_cvt_i32_f32_e32 v15, v13
	v_add_co_u32_e32 v13, vcc, s10, v0
	v_addc_co_u32_e32 v14, vcc, v11, v1, vcc
	v_add_co_u32_e32 v0, vcc, s17, v0
	v_addc_co_u32_e32 v1, vcc, v1, v12, vcc
	v_subrev_co_u32_e32 v2, vcc, s17, v2
	v_subb_co_u32_e32 v3, vcc, v3, v12, vcc
	v_cmp_le_i64_e32 vcc, s[12:13], v[0:1]
	global_store_byte v[13:14], v15, off
	s_or_b64 s[14:15], vcc, s[14:15]
	s_andn2_b64 exec, exec, s[14:15]
	s_cbranch_execz .LBB25_7
.LBB25_3:                               ; =>This Inner Loop Header: Depth=1
	v_cmp_le_i64_e32 vcc, s[8:9], v[0:1]
                                        ; implicit-def: $vgpr13
	s_and_saveexec_b64 s[0:1], vcc
	s_xor_b64 s[0:1], exec, s[0:1]
	s_cbranch_execz .LBB25_5
; %bb.4:                                ;   in Loop: Header=BB25_3 Depth=1
	v_xor_b32_e32 v14, v2, v3
	v_ffbh_i32_e32 v13, v3
	v_ashrrev_i32_e32 v14, 31, v14
	v_add_u32_e32 v13, -1, v13
	v_add_u32_e32 v14, 32, v14
	v_min_u32_e32 v15, v13, v14
	v_lshlrev_b64 v[13:14], v15, v[2:3]
	v_min_u32_e32 v13, 1, v13
	v_or_b32_e32 v13, v14, v13
	v_cvt_f32_i32_e32 v13, v13
	v_sub_u32_e32 v14, 32, v15
	v_ldexp_f32 v13, v13, v14
	v_fma_f32 v13, -s16, v13, v4
.LBB25_5:                               ;   in Loop: Header=BB25_3 Depth=1
	s_andn2_saveexec_b64 s[0:1], s[0:1]
	s_cbranch_execz .LBB25_2
; %bb.6:                                ;   in Loop: Header=BB25_3 Depth=1
	v_ffbh_u32_e32 v13, v1
	v_min_u32_e32 v15, 32, v13
	v_lshlrev_b64 v[13:14], v15, v[0:1]
	v_min_u32_e32 v13, 1, v13
	v_or_b32_e32 v13, v14, v13
	v_cvt_f32_u32_e32 v13, v13
	v_sub_u32_e32 v14, 32, v15
	v_ldexp_f32 v13, v13, v14
	v_fma_f32 v13, s16, v13, v5
	s_branch .LBB25_2
.LBB25_7:
	s_endpgm
	.section	.rodata,"a",@progbits
	.p2align	6, 0x0
	.amdhsa_kernel _ZN12_GLOBAL__N_141elementwise_kernel_with_index_grid_strideIlZZZN2at6native17logspace_cuda_outERKN3c106ScalarES6_ldRNS1_6TensorEENKUlvE_clEvENKUlvE0_clEvEUllE_EEvT_T0_PN15function_traitsISD_E11result_typeE
		.amdhsa_group_segment_fixed_size 0
		.amdhsa_private_segment_fixed_size 0
		.amdhsa_kernarg_size 304
		.amdhsa_user_sgpr_count 6
		.amdhsa_user_sgpr_private_segment_buffer 1
		.amdhsa_user_sgpr_dispatch_ptr 0
		.amdhsa_user_sgpr_queue_ptr 0
		.amdhsa_user_sgpr_kernarg_segment_ptr 1
		.amdhsa_user_sgpr_dispatch_id 0
		.amdhsa_user_sgpr_flat_scratch_init 0
		.amdhsa_user_sgpr_private_segment_size 0
		.amdhsa_uses_dynamic_stack 0
		.amdhsa_system_sgpr_private_segment_wavefront_offset 0
		.amdhsa_system_sgpr_workgroup_id_x 1
		.amdhsa_system_sgpr_workgroup_id_y 0
		.amdhsa_system_sgpr_workgroup_id_z 0
		.amdhsa_system_sgpr_workgroup_info 0
		.amdhsa_system_vgpr_workitem_id 0
		.amdhsa_next_free_vgpr 23
		.amdhsa_next_free_sgpr 26
		.amdhsa_reserve_vcc 1
		.amdhsa_reserve_flat_scratch 0
		.amdhsa_float_round_mode_32 0
		.amdhsa_float_round_mode_16_64 0
		.amdhsa_float_denorm_mode_32 3
		.amdhsa_float_denorm_mode_16_64 3
		.amdhsa_dx10_clamp 1
		.amdhsa_ieee_mode 1
		.amdhsa_fp16_overflow 0
		.amdhsa_exception_fp_ieee_invalid_op 0
		.amdhsa_exception_fp_denorm_src 0
		.amdhsa_exception_fp_ieee_div_zero 0
		.amdhsa_exception_fp_ieee_overflow 0
		.amdhsa_exception_fp_ieee_underflow 0
		.amdhsa_exception_fp_ieee_inexact 0
		.amdhsa_exception_int_div_zero 0
	.end_amdhsa_kernel
	.section	.text._ZN12_GLOBAL__N_141elementwise_kernel_with_index_grid_strideIlZZZN2at6native17logspace_cuda_outERKN3c106ScalarES6_ldRNS1_6TensorEENKUlvE_clEvENKUlvE0_clEvEUllE_EEvT_T0_PN15function_traitsISD_E11result_typeE,"axG",@progbits,_ZN12_GLOBAL__N_141elementwise_kernel_with_index_grid_strideIlZZZN2at6native17logspace_cuda_outERKN3c106ScalarES6_ldRNS1_6TensorEENKUlvE_clEvENKUlvE0_clEvEUllE_EEvT_T0_PN15function_traitsISD_E11result_typeE,comdat
.Lfunc_end25:
	.size	_ZN12_GLOBAL__N_141elementwise_kernel_with_index_grid_strideIlZZZN2at6native17logspace_cuda_outERKN3c106ScalarES6_ldRNS1_6TensorEENKUlvE_clEvENKUlvE0_clEvEUllE_EEvT_T0_PN15function_traitsISD_E11result_typeE, .Lfunc_end25-_ZN12_GLOBAL__N_141elementwise_kernel_with_index_grid_strideIlZZZN2at6native17logspace_cuda_outERKN3c106ScalarES6_ldRNS1_6TensorEENKUlvE_clEvENKUlvE0_clEvEUllE_EEvT_T0_PN15function_traitsISD_E11result_typeE
                                        ; -- End function
	.set _ZN12_GLOBAL__N_141elementwise_kernel_with_index_grid_strideIlZZZN2at6native17logspace_cuda_outERKN3c106ScalarES6_ldRNS1_6TensorEENKUlvE_clEvENKUlvE0_clEvEUllE_EEvT_T0_PN15function_traitsISD_E11result_typeE.num_vgpr, 23
	.set _ZN12_GLOBAL__N_141elementwise_kernel_with_index_grid_strideIlZZZN2at6native17logspace_cuda_outERKN3c106ScalarES6_ldRNS1_6TensorEENKUlvE_clEvENKUlvE0_clEvEUllE_EEvT_T0_PN15function_traitsISD_E11result_typeE.num_agpr, 0
	.set _ZN12_GLOBAL__N_141elementwise_kernel_with_index_grid_strideIlZZZN2at6native17logspace_cuda_outERKN3c106ScalarES6_ldRNS1_6TensorEENKUlvE_clEvENKUlvE0_clEvEUllE_EEvT_T0_PN15function_traitsISD_E11result_typeE.numbered_sgpr, 26
	.set _ZN12_GLOBAL__N_141elementwise_kernel_with_index_grid_strideIlZZZN2at6native17logspace_cuda_outERKN3c106ScalarES6_ldRNS1_6TensorEENKUlvE_clEvENKUlvE0_clEvEUllE_EEvT_T0_PN15function_traitsISD_E11result_typeE.num_named_barrier, 0
	.set _ZN12_GLOBAL__N_141elementwise_kernel_with_index_grid_strideIlZZZN2at6native17logspace_cuda_outERKN3c106ScalarES6_ldRNS1_6TensorEENKUlvE_clEvENKUlvE0_clEvEUllE_EEvT_T0_PN15function_traitsISD_E11result_typeE.private_seg_size, 0
	.set _ZN12_GLOBAL__N_141elementwise_kernel_with_index_grid_strideIlZZZN2at6native17logspace_cuda_outERKN3c106ScalarES6_ldRNS1_6TensorEENKUlvE_clEvENKUlvE0_clEvEUllE_EEvT_T0_PN15function_traitsISD_E11result_typeE.uses_vcc, 1
	.set _ZN12_GLOBAL__N_141elementwise_kernel_with_index_grid_strideIlZZZN2at6native17logspace_cuda_outERKN3c106ScalarES6_ldRNS1_6TensorEENKUlvE_clEvENKUlvE0_clEvEUllE_EEvT_T0_PN15function_traitsISD_E11result_typeE.uses_flat_scratch, 0
	.set _ZN12_GLOBAL__N_141elementwise_kernel_with_index_grid_strideIlZZZN2at6native17logspace_cuda_outERKN3c106ScalarES6_ldRNS1_6TensorEENKUlvE_clEvENKUlvE0_clEvEUllE_EEvT_T0_PN15function_traitsISD_E11result_typeE.has_dyn_sized_stack, 0
	.set _ZN12_GLOBAL__N_141elementwise_kernel_with_index_grid_strideIlZZZN2at6native17logspace_cuda_outERKN3c106ScalarES6_ldRNS1_6TensorEENKUlvE_clEvENKUlvE0_clEvEUllE_EEvT_T0_PN15function_traitsISD_E11result_typeE.has_recursion, 0
	.set _ZN12_GLOBAL__N_141elementwise_kernel_with_index_grid_strideIlZZZN2at6native17logspace_cuda_outERKN3c106ScalarES6_ldRNS1_6TensorEENKUlvE_clEvENKUlvE0_clEvEUllE_EEvT_T0_PN15function_traitsISD_E11result_typeE.has_indirect_call, 0
	.section	.AMDGPU.csdata,"",@progbits
; Kernel info:
; codeLenInByte = 1328
; TotalNumSgprs: 30
; NumVgprs: 23
; ScratchSize: 0
; MemoryBound: 0
; FloatMode: 240
; IeeeMode: 1
; LDSByteSize: 0 bytes/workgroup (compile time only)
; SGPRBlocks: 3
; VGPRBlocks: 5
; NumSGPRsForWavesPerEU: 30
; NumVGPRsForWavesPerEU: 23
; Occupancy: 10
; WaveLimiterHint : 0
; COMPUTE_PGM_RSRC2:SCRATCH_EN: 0
; COMPUTE_PGM_RSRC2:USER_SGPR: 6
; COMPUTE_PGM_RSRC2:TRAP_HANDLER: 0
; COMPUTE_PGM_RSRC2:TGID_X_EN: 1
; COMPUTE_PGM_RSRC2:TGID_Y_EN: 0
; COMPUTE_PGM_RSRC2:TGID_Z_EN: 0
; COMPUTE_PGM_RSRC2:TIDIG_COMP_CNT: 0
	.section	.text._ZN12_GLOBAL__N_141elementwise_kernel_with_index_grid_strideIiZZZN2at6native17logspace_cuda_outERKN3c106ScalarES6_ldRNS1_6TensorEENKUlvE_clEvENKUlvE1_clEvEUllE_EEvT_T0_PN15function_traitsISD_E11result_typeE,"axG",@progbits,_ZN12_GLOBAL__N_141elementwise_kernel_with_index_grid_strideIiZZZN2at6native17logspace_cuda_outERKN3c106ScalarES6_ldRNS1_6TensorEENKUlvE_clEvENKUlvE1_clEvEUllE_EEvT_T0_PN15function_traitsISD_E11result_typeE,comdat
	.globl	_ZN12_GLOBAL__N_141elementwise_kernel_with_index_grid_strideIiZZZN2at6native17logspace_cuda_outERKN3c106ScalarES6_ldRNS1_6TensorEENKUlvE_clEvENKUlvE1_clEvEUllE_EEvT_T0_PN15function_traitsISD_E11result_typeE ; -- Begin function _ZN12_GLOBAL__N_141elementwise_kernel_with_index_grid_strideIiZZZN2at6native17logspace_cuda_outERKN3c106ScalarES6_ldRNS1_6TensorEENKUlvE_clEvENKUlvE1_clEvEUllE_EEvT_T0_PN15function_traitsISD_E11result_typeE
	.p2align	8
	.type	_ZN12_GLOBAL__N_141elementwise_kernel_with_index_grid_strideIiZZZN2at6native17logspace_cuda_outERKN3c106ScalarES6_ldRNS1_6TensorEENKUlvE_clEvENKUlvE1_clEvEUllE_EEvT_T0_PN15function_traitsISD_E11result_typeE,@function
_ZN12_GLOBAL__N_141elementwise_kernel_with_index_grid_strideIiZZZN2at6native17logspace_cuda_outERKN3c106ScalarES6_ldRNS1_6TensorEENKUlvE_clEvENKUlvE1_clEvEUllE_EEvT_T0_PN15function_traitsISD_E11result_typeE: ; @_ZN12_GLOBAL__N_141elementwise_kernel_with_index_grid_strideIiZZZN2at6native17logspace_cuda_outERKN3c106ScalarES6_ldRNS1_6TensorEENKUlvE_clEvENKUlvE1_clEvEUllE_EEvT_T0_PN15function_traitsISD_E11result_typeE
; %bb.0:
	s_load_dword s2, s[4:5], 0x44
	s_load_dword s16, s[4:5], 0x0
	s_add_u32 s0, s4, 56
	s_addc_u32 s1, s5, 0
	s_waitcnt lgkmcnt(0)
	s_and_b32 s2, s2, 0xffff
	s_mul_i32 s6, s6, s2
	v_add_u32_e32 v0, s6, v0
	v_cmp_gt_i32_e32 vcc, s16, v0
	s_and_saveexec_b64 s[6:7], vcc
	s_cbranch_execz .LBB26_7
; %bb.1:
	s_load_dword s3, s[0:1], 0x0
	s_load_dwordx2 s[12:13], s[4:5], 0x8
	s_load_dword s18, s[4:5], 0x10
	s_load_dwordx2 s[14:15], s[4:5], 0x18
	s_load_dword s17, s[4:5], 0x20
	s_load_dwordx4 s[8:11], s[4:5], 0x28
	v_ashrrev_i32_e32 v1, 31, v0
	v_not_b32_e32 v2, v0
	v_not_b32_e32 v3, v1
	s_waitcnt lgkmcnt(0)
	v_mov_b32_e32 v4, s15
	v_add_co_u32_e32 v2, vcc, s14, v2
	v_cvt_f32_i32_e32 v6, s13
	v_cvt_f32_i32_e32 v7, s12
	v_addc_co_u32_e32 v3, vcc, v3, v4, vcc
	v_lshlrev_b64 v[4:5], 2, v[0:1]
	s_mul_i32 s6, s3, s2
	s_ashr_i32 s7, s6, 31
	v_mov_b32_e32 v8, s11
	v_add_co_u32_e32 v4, vcc, s10, v4
	v_cmp_eq_f32_e64 s[12:13], s18, 1.0
	v_addc_co_u32_e32 v5, vcc, v8, v5, vcc
	s_lshl_b64 s[10:11], s[6:7], 2
	s_mov_b64 s[14:15], 0
	v_mov_b32_e32 v8, s18
	s_mov_b32 s18, 0x3f2aaaab
	v_mov_b32_e32 v9, 0x3ecccdef
	s_mov_b32 s19, 0x3f317218
	s_movk_i32 s20, 0x204
	s_mov_b32 s21, 0x7f800000
	s_mov_b32 s22, 0x42b17218
	;; [unrolled: 1-line block ×4, first 2 shown]
	s_brev_b32 s25, -2
	v_mov_b32_e32 v10, 0x37000000
	v_mov_b32_e32 v11, 0x7f800000
	v_mov_b32_e32 v12, 0x7fc00000
	s_branch .LBB26_3
.LBB26_2:                               ;   in Loop: Header=BB26_3 Depth=1
	s_or_b64 exec, exec, s[0:1]
	v_cndmask_b32_e64 v15, v13, 1.0, s[12:13]
	v_cmp_neq_f32_e32 vcc, 0, v15
	v_cndmask_b32_e32 v16, 1.0, v8, vcc
	v_frexp_mant_f32_e64 v13, |v16|
	v_cmp_gt_f32_e32 vcc, s18, v13
	v_cndmask_b32_e64 v14, 1.0, 2.0, vcc
	v_mul_f32_e32 v13, v13, v14
	v_add_f32_e32 v17, 1.0, v13
	v_add_f32_e32 v18, -1.0, v17
	v_add_f32_e32 v14, -1.0, v13
	v_sub_f32_e32 v13, v13, v18
	v_rcp_f32_e32 v18, v17
	v_cmp_gt_f32_e64 s[2:3], 0, v16
	v_cmp_lt_f32_e64 s[4:5], |v16|, 1.0
	v_mul_f32_e32 v19, v14, v18
	v_mul_f32_e32 v20, v17, v19
	v_fma_f32 v17, v19, v17, -v20
	v_fmac_f32_e32 v17, v19, v13
	v_add_f32_e32 v13, v20, v17
	v_sub_f32_e32 v21, v14, v13
	v_sub_f32_e32 v20, v13, v20
	;; [unrolled: 1-line block ×5, first 2 shown]
	v_add_f32_e32 v13, v14, v13
	v_add_f32_e32 v13, v21, v13
	v_mul_f32_e32 v13, v18, v13
	v_add_f32_e32 v17, v19, v13
	v_sub_f32_e32 v14, v17, v19
	v_sub_f32_e32 v18, v13, v14
	v_mul_f32_e32 v13, v17, v17
	v_fma_f32 v14, v17, v17, -v13
	v_add_f32_e32 v19, v18, v18
	v_fmac_f32_e32 v14, v17, v19
	v_add_f32_e32 v19, v13, v14
	v_sub_f32_e32 v13, v19, v13
	v_sub_f32_e32 v13, v14, v13
	v_mul_f32_e32 v14, v17, v19
	v_fma_f32 v21, v19, v17, -v14
	v_fmac_f32_e32 v21, v19, v18
	v_mov_b32_e32 v20, 0x3e91f4c4
	v_fmac_f32_e32 v21, v13, v17
	v_fmac_f32_e32 v20, 0x3e76c4e1, v19
	v_add_f32_e32 v22, v14, v21
	v_fma_f32 v20, v19, v20, v9
	v_sub_f32_e32 v14, v22, v14
	v_sub_f32_e32 v14, v21, v14
	v_mul_f32_e32 v21, v19, v20
	v_fma_f32 v19, v19, v20, -v21
	v_fmac_f32_e32 v19, v13, v20
	v_add_f32_e32 v13, v21, v19
	v_add_f32_e32 v20, 0x3f2aaaaa, v13
	v_sub_f32_e32 v21, v13, v21
	v_sub_f32_e32 v19, v19, v21
	v_add_f32_e32 v21, 0xbf2aaaaa, v20
	v_add_f32_e32 v19, 0x31739010, v19
	v_sub_f32_e32 v13, v13, v21
	v_add_f32_e32 v13, v19, v13
	v_add_f32_e32 v19, v20, v13
	v_sub_f32_e32 v20, v20, v19
	v_add_f32_e32 v13, v13, v20
	v_mul_f32_e32 v20, v22, v19
	v_fma_f32 v21, v22, v19, -v20
	v_fmac_f32_e32 v21, v22, v13
	v_fmac_f32_e32 v21, v14, v19
	v_cvt_f64_f32_e64 v[13:14], |v16|
	v_ldexp_f32 v17, v17, 1
	v_frexp_exp_i32_f64_e32 v13, v[13:14]
	v_subbrev_co_u32_e32 v13, vcc, 0, v13, vcc
	v_cvt_f32_i32_e32 v13, v13
	v_mul_f32_e32 v14, 0x3f317218, v13
	v_fma_f32 v19, v13, s19, -v14
	v_fmac_f32_e32 v19, 0xb102e308, v13
	v_ldexp_f32 v13, v18, 1
	v_add_f32_e32 v18, v14, v19
	v_sub_f32_e32 v14, v18, v14
	v_sub_f32_e32 v14, v19, v14
	v_add_f32_e32 v19, v20, v21
	v_sub_f32_e32 v20, v19, v20
	v_sub_f32_e32 v20, v21, v20
	;; [unrolled: 3-line block ×3, first 2 shown]
	v_add_f32_e32 v13, v13, v20
	v_add_f32_e32 v13, v13, v17
	;; [unrolled: 1-line block ×3, first 2 shown]
	v_sub_f32_e32 v19, v17, v21
	v_sub_f32_e32 v13, v13, v19
	v_add_f32_e32 v19, v18, v17
	v_sub_f32_e32 v20, v19, v18
	v_sub_f32_e32 v21, v19, v20
	;; [unrolled: 1-line block ×4, first 2 shown]
	v_add_f32_e32 v17, v17, v18
	v_add_f32_e32 v18, v14, v13
	v_sub_f32_e32 v20, v18, v14
	v_sub_f32_e32 v21, v18, v20
	;; [unrolled: 1-line block ×4, first 2 shown]
	v_add_f32_e32 v13, v13, v14
	v_add_f32_e32 v14, v18, v17
	;; [unrolled: 1-line block ×3, first 2 shown]
	v_sub_f32_e32 v18, v17, v19
	v_sub_f32_e32 v14, v14, v18
	v_add_f32_e32 v13, v13, v14
	v_add_f32_e32 v14, v17, v13
	v_sub_f32_e32 v17, v14, v17
	v_sub_f32_e32 v13, v13, v17
	v_mul_f32_e32 v17, v15, v14
	v_fma_f32 v14, v15, v14, -v17
	v_fmac_f32_e32 v14, v15, v13
	v_add_f32_e32 v13, v17, v14
	v_cmp_class_f32_e64 vcc, v17, s20
	v_sub_f32_e32 v18, v13, v17
	v_cndmask_b32_e32 v13, v13, v17, vcc
	v_sub_f32_e32 v14, v14, v18
	v_cmp_neq_f32_e64 vcc, |v13|, s21
	v_cndmask_b32_e32 v14, 0, v14, vcc
	v_cmp_eq_f32_e32 vcc, s22, v13
	v_cndmask_b32_e32 v17, 0, v10, vcc
	v_sub_f32_e32 v13, v13, v17
	v_add_f32_e32 v14, v17, v14
	v_mul_f32_e32 v17, 0x3fb8aa3b, v13
	v_fma_f32 v18, v13, s23, -v17
	v_rndne_f32_e32 v19, v17
	v_fmac_f32_e32 v18, 0x32a5705f, v13
	v_sub_f32_e32 v17, v17, v19
	v_add_f32_e32 v17, v17, v18
	v_exp_f32_e32 v17, v17
	v_cvt_i32_f32_e32 v18, v19
	v_cmp_ngt_f32_e32 vcc, s24, v13
	v_ldexp_f32 v17, v17, v18
	v_cndmask_b32_e32 v17, 0, v17, vcc
	v_cmp_nlt_f32_e32 vcc, s22, v13
	v_cndmask_b32_e32 v13, v11, v17, vcc
	v_fma_f32 v14, v13, v14, v13
	v_cmp_class_f32_e64 vcc, v13, s20
	v_cndmask_b32_e32 v13, v14, v13, vcc
	v_trunc_f32_e32 v14, v15
	v_cmp_eq_f32_e32 vcc, v14, v15
	v_mul_f32_e32 v14, 0.5, v15
	v_trunc_f32_e32 v17, v14
	v_cmp_neq_f32_e64 s[0:1], v17, v14
	s_and_b64 s[0:1], vcc, s[0:1]
	v_cndmask_b32_e64 v14, 1.0, v16, s[0:1]
	v_bfi_b32 v13, s25, v13, v14
	v_cndmask_b32_e32 v14, v12, v13, vcc
	v_cndmask_b32_e64 v13, v13, v14, s[2:3]
	v_cmp_neq_f32_e64 s[2:3], v15, |v15|
	s_xor_b64 s[2:3], s[2:3], s[4:5]
	v_cndmask_b32_e64 v14, v11, 0, s[2:3]
	v_cmp_neq_f32_e64 s[2:3], |v16|, 1.0
	v_cmp_class_f32_e64 vcc, v15, s20
	v_cndmask_b32_e64 v14, 1.0, v14, s[2:3]
	v_cndmask_b32_e32 v13, v13, v14, vcc
	v_cmp_eq_f32_e32 vcc, 0, v16
	v_cmp_gt_f32_e64 s[4:5], 0, v15
	s_xor_b64 s[4:5], s[4:5], vcc
	v_cmp_class_f32_e64 s[2:3], v16, s20
	v_cndmask_b32_e64 v14, v11, 0, s[4:5]
	v_cndmask_b32_e64 v17, 0, v16, s[0:1]
	s_or_b64 s[2:3], vcc, s[2:3]
	v_bfi_b32 v14, s25, v14, v17
	v_cndmask_b32_e64 v13, v13, v14, s[2:3]
	v_cmp_o_f32_e32 vcc, v16, v15
	v_cndmask_b32_e32 v13, v12, v13, vcc
	v_cvt_i32_f32_e32 v13, v13
	v_add_co_u32_e32 v0, vcc, s6, v0
	global_store_dword v[4:5], v13, off
	v_mov_b32_e32 v13, s7
	v_addc_co_u32_e32 v1, vcc, v1, v13, vcc
	v_subrev_co_u32_e32 v2, vcc, s6, v2
	v_subb_co_u32_e32 v3, vcc, v3, v13, vcc
	v_add_co_u32_e32 v4, vcc, s10, v4
	v_mov_b32_e32 v13, s11
	v_addc_co_u32_e32 v5, vcc, v5, v13, vcc
	v_cmp_le_i32_e32 vcc, s16, v0
	s_or_b64 s[14:15], vcc, s[14:15]
	s_andn2_b64 exec, exec, s[14:15]
	s_cbranch_execz .LBB26_7
.LBB26_3:                               ; =>This Inner Loop Header: Depth=1
	v_cmp_le_i64_e32 vcc, s[8:9], v[0:1]
                                        ; implicit-def: $vgpr13
	s_and_saveexec_b64 s[0:1], vcc
	s_xor_b64 s[0:1], exec, s[0:1]
	s_cbranch_execz .LBB26_5
; %bb.4:                                ;   in Loop: Header=BB26_3 Depth=1
	v_xor_b32_e32 v14, v2, v3
	v_ffbh_i32_e32 v13, v3
	v_ashrrev_i32_e32 v14, 31, v14
	v_add_u32_e32 v13, -1, v13
	v_add_u32_e32 v14, 32, v14
	v_min_u32_e32 v15, v13, v14
	v_lshlrev_b64 v[13:14], v15, v[2:3]
	v_min_u32_e32 v13, 1, v13
	v_or_b32_e32 v13, v14, v13
	v_cvt_f32_i32_e32 v13, v13
	v_sub_u32_e32 v14, 32, v15
	v_ldexp_f32 v13, v13, v14
	v_fma_f32 v13, -s17, v13, v6
.LBB26_5:                               ;   in Loop: Header=BB26_3 Depth=1
	s_andn2_saveexec_b64 s[0:1], s[0:1]
	s_cbranch_execz .LBB26_2
; %bb.6:                                ;   in Loop: Header=BB26_3 Depth=1
	v_cvt_f32_i32_e32 v13, v0
	v_fma_f32 v13, s17, v13, v7
	s_branch .LBB26_2
.LBB26_7:
	s_endpgm
	.section	.rodata,"a",@progbits
	.p2align	6, 0x0
	.amdhsa_kernel _ZN12_GLOBAL__N_141elementwise_kernel_with_index_grid_strideIiZZZN2at6native17logspace_cuda_outERKN3c106ScalarES6_ldRNS1_6TensorEENKUlvE_clEvENKUlvE1_clEvEUllE_EEvT_T0_PN15function_traitsISD_E11result_typeE
		.amdhsa_group_segment_fixed_size 0
		.amdhsa_private_segment_fixed_size 0
		.amdhsa_kernarg_size 312
		.amdhsa_user_sgpr_count 6
		.amdhsa_user_sgpr_private_segment_buffer 1
		.amdhsa_user_sgpr_dispatch_ptr 0
		.amdhsa_user_sgpr_queue_ptr 0
		.amdhsa_user_sgpr_kernarg_segment_ptr 1
		.amdhsa_user_sgpr_dispatch_id 0
		.amdhsa_user_sgpr_flat_scratch_init 0
		.amdhsa_user_sgpr_private_segment_size 0
		.amdhsa_uses_dynamic_stack 0
		.amdhsa_system_sgpr_private_segment_wavefront_offset 0
		.amdhsa_system_sgpr_workgroup_id_x 1
		.amdhsa_system_sgpr_workgroup_id_y 0
		.amdhsa_system_sgpr_workgroup_id_z 0
		.amdhsa_system_sgpr_workgroup_info 0
		.amdhsa_system_vgpr_workitem_id 0
		.amdhsa_next_free_vgpr 23
		.amdhsa_next_free_sgpr 26
		.amdhsa_reserve_vcc 1
		.amdhsa_reserve_flat_scratch 0
		.amdhsa_float_round_mode_32 0
		.amdhsa_float_round_mode_16_64 0
		.amdhsa_float_denorm_mode_32 3
		.amdhsa_float_denorm_mode_16_64 3
		.amdhsa_dx10_clamp 1
		.amdhsa_ieee_mode 1
		.amdhsa_fp16_overflow 0
		.amdhsa_exception_fp_ieee_invalid_op 0
		.amdhsa_exception_fp_denorm_src 0
		.amdhsa_exception_fp_ieee_div_zero 0
		.amdhsa_exception_fp_ieee_overflow 0
		.amdhsa_exception_fp_ieee_underflow 0
		.amdhsa_exception_fp_ieee_inexact 0
		.amdhsa_exception_int_div_zero 0
	.end_amdhsa_kernel
	.section	.text._ZN12_GLOBAL__N_141elementwise_kernel_with_index_grid_strideIiZZZN2at6native17logspace_cuda_outERKN3c106ScalarES6_ldRNS1_6TensorEENKUlvE_clEvENKUlvE1_clEvEUllE_EEvT_T0_PN15function_traitsISD_E11result_typeE,"axG",@progbits,_ZN12_GLOBAL__N_141elementwise_kernel_with_index_grid_strideIiZZZN2at6native17logspace_cuda_outERKN3c106ScalarES6_ldRNS1_6TensorEENKUlvE_clEvENKUlvE1_clEvEUllE_EEvT_T0_PN15function_traitsISD_E11result_typeE,comdat
.Lfunc_end26:
	.size	_ZN12_GLOBAL__N_141elementwise_kernel_with_index_grid_strideIiZZZN2at6native17logspace_cuda_outERKN3c106ScalarES6_ldRNS1_6TensorEENKUlvE_clEvENKUlvE1_clEvEUllE_EEvT_T0_PN15function_traitsISD_E11result_typeE, .Lfunc_end26-_ZN12_GLOBAL__N_141elementwise_kernel_with_index_grid_strideIiZZZN2at6native17logspace_cuda_outERKN3c106ScalarES6_ldRNS1_6TensorEENKUlvE_clEvENKUlvE1_clEvEUllE_EEvT_T0_PN15function_traitsISD_E11result_typeE
                                        ; -- End function
	.set _ZN12_GLOBAL__N_141elementwise_kernel_with_index_grid_strideIiZZZN2at6native17logspace_cuda_outERKN3c106ScalarES6_ldRNS1_6TensorEENKUlvE_clEvENKUlvE1_clEvEUllE_EEvT_T0_PN15function_traitsISD_E11result_typeE.num_vgpr, 23
	.set _ZN12_GLOBAL__N_141elementwise_kernel_with_index_grid_strideIiZZZN2at6native17logspace_cuda_outERKN3c106ScalarES6_ldRNS1_6TensorEENKUlvE_clEvENKUlvE1_clEvEUllE_EEvT_T0_PN15function_traitsISD_E11result_typeE.num_agpr, 0
	.set _ZN12_GLOBAL__N_141elementwise_kernel_with_index_grid_strideIiZZZN2at6native17logspace_cuda_outERKN3c106ScalarES6_ldRNS1_6TensorEENKUlvE_clEvENKUlvE1_clEvEUllE_EEvT_T0_PN15function_traitsISD_E11result_typeE.numbered_sgpr, 26
	.set _ZN12_GLOBAL__N_141elementwise_kernel_with_index_grid_strideIiZZZN2at6native17logspace_cuda_outERKN3c106ScalarES6_ldRNS1_6TensorEENKUlvE_clEvENKUlvE1_clEvEUllE_EEvT_T0_PN15function_traitsISD_E11result_typeE.num_named_barrier, 0
	.set _ZN12_GLOBAL__N_141elementwise_kernel_with_index_grid_strideIiZZZN2at6native17logspace_cuda_outERKN3c106ScalarES6_ldRNS1_6TensorEENKUlvE_clEvENKUlvE1_clEvEUllE_EEvT_T0_PN15function_traitsISD_E11result_typeE.private_seg_size, 0
	.set _ZN12_GLOBAL__N_141elementwise_kernel_with_index_grid_strideIiZZZN2at6native17logspace_cuda_outERKN3c106ScalarES6_ldRNS1_6TensorEENKUlvE_clEvENKUlvE1_clEvEUllE_EEvT_T0_PN15function_traitsISD_E11result_typeE.uses_vcc, 1
	.set _ZN12_GLOBAL__N_141elementwise_kernel_with_index_grid_strideIiZZZN2at6native17logspace_cuda_outERKN3c106ScalarES6_ldRNS1_6TensorEENKUlvE_clEvENKUlvE1_clEvEUllE_EEvT_T0_PN15function_traitsISD_E11result_typeE.uses_flat_scratch, 0
	.set _ZN12_GLOBAL__N_141elementwise_kernel_with_index_grid_strideIiZZZN2at6native17logspace_cuda_outERKN3c106ScalarES6_ldRNS1_6TensorEENKUlvE_clEvENKUlvE1_clEvEUllE_EEvT_T0_PN15function_traitsISD_E11result_typeE.has_dyn_sized_stack, 0
	.set _ZN12_GLOBAL__N_141elementwise_kernel_with_index_grid_strideIiZZZN2at6native17logspace_cuda_outERKN3c106ScalarES6_ldRNS1_6TensorEENKUlvE_clEvENKUlvE1_clEvEUllE_EEvT_T0_PN15function_traitsISD_E11result_typeE.has_recursion, 0
	.set _ZN12_GLOBAL__N_141elementwise_kernel_with_index_grid_strideIiZZZN2at6native17logspace_cuda_outERKN3c106ScalarES6_ldRNS1_6TensorEENKUlvE_clEvENKUlvE1_clEvEUllE_EEvT_T0_PN15function_traitsISD_E11result_typeE.has_indirect_call, 0
	.section	.AMDGPU.csdata,"",@progbits
; Kernel info:
; codeLenInByte = 1300
; TotalNumSgprs: 30
; NumVgprs: 23
; ScratchSize: 0
; MemoryBound: 0
; FloatMode: 240
; IeeeMode: 1
; LDSByteSize: 0 bytes/workgroup (compile time only)
; SGPRBlocks: 3
; VGPRBlocks: 5
; NumSGPRsForWavesPerEU: 30
; NumVGPRsForWavesPerEU: 23
; Occupancy: 10
; WaveLimiterHint : 0
; COMPUTE_PGM_RSRC2:SCRATCH_EN: 0
; COMPUTE_PGM_RSRC2:USER_SGPR: 6
; COMPUTE_PGM_RSRC2:TRAP_HANDLER: 0
; COMPUTE_PGM_RSRC2:TGID_X_EN: 1
; COMPUTE_PGM_RSRC2:TGID_Y_EN: 0
; COMPUTE_PGM_RSRC2:TGID_Z_EN: 0
; COMPUTE_PGM_RSRC2:TIDIG_COMP_CNT: 0
	.section	.text._ZN12_GLOBAL__N_141elementwise_kernel_with_index_grid_strideIlZZZN2at6native17logspace_cuda_outERKN3c106ScalarES6_ldRNS1_6TensorEENKUlvE_clEvENKUlvE1_clEvEUllE_EEvT_T0_PN15function_traitsISD_E11result_typeE,"axG",@progbits,_ZN12_GLOBAL__N_141elementwise_kernel_with_index_grid_strideIlZZZN2at6native17logspace_cuda_outERKN3c106ScalarES6_ldRNS1_6TensorEENKUlvE_clEvENKUlvE1_clEvEUllE_EEvT_T0_PN15function_traitsISD_E11result_typeE,comdat
	.globl	_ZN12_GLOBAL__N_141elementwise_kernel_with_index_grid_strideIlZZZN2at6native17logspace_cuda_outERKN3c106ScalarES6_ldRNS1_6TensorEENKUlvE_clEvENKUlvE1_clEvEUllE_EEvT_T0_PN15function_traitsISD_E11result_typeE ; -- Begin function _ZN12_GLOBAL__N_141elementwise_kernel_with_index_grid_strideIlZZZN2at6native17logspace_cuda_outERKN3c106ScalarES6_ldRNS1_6TensorEENKUlvE_clEvENKUlvE1_clEvEUllE_EEvT_T0_PN15function_traitsISD_E11result_typeE
	.p2align	8
	.type	_ZN12_GLOBAL__N_141elementwise_kernel_with_index_grid_strideIlZZZN2at6native17logspace_cuda_outERKN3c106ScalarES6_ldRNS1_6TensorEENKUlvE_clEvENKUlvE1_clEvEUllE_EEvT_T0_PN15function_traitsISD_E11result_typeE,@function
_ZN12_GLOBAL__N_141elementwise_kernel_with_index_grid_strideIlZZZN2at6native17logspace_cuda_outERKN3c106ScalarES6_ldRNS1_6TensorEENKUlvE_clEvENKUlvE1_clEvEUllE_EEvT_T0_PN15function_traitsISD_E11result_typeE: ; @_ZN12_GLOBAL__N_141elementwise_kernel_with_index_grid_strideIlZZZN2at6native17logspace_cuda_outERKN3c106ScalarES6_ldRNS1_6TensorEENKUlvE_clEvENKUlvE1_clEvEUllE_EEvT_T0_PN15function_traitsISD_E11result_typeE
; %bb.0:
	s_load_dword s2, s[4:5], 0x44
	s_load_dwordx2 s[12:13], s[4:5], 0x0
	s_add_u32 s0, s4, 56
	s_addc_u32 s1, s5, 0
	v_mov_b32_e32 v1, 0
	s_waitcnt lgkmcnt(0)
	s_and_b32 s2, s2, 0xffff
	v_mov_b32_e32 v2, s6
	v_mad_u64_u32 v[0:1], s[6:7], s2, v2, v[0:1]
	v_cmp_gt_i64_e32 vcc, s[12:13], v[0:1]
	s_and_saveexec_b64 s[6:7], vcc
	s_cbranch_execz .LBB27_7
; %bb.1:
	s_load_dword s3, s[0:1], 0x0
	s_load_dwordx2 s[14:15], s[4:5], 0x8
	s_load_dword s19, s[4:5], 0x10
	s_load_dwordx2 s[16:17], s[4:5], 0x18
	s_load_dword s18, s[4:5], 0x20
	s_load_dwordx4 s[8:11], s[4:5], 0x28
	v_not_b32_e32 v2, v0
	v_not_b32_e32 v3, v1
	s_waitcnt lgkmcnt(0)
	v_mov_b32_e32 v4, s17
	v_add_co_u32_e32 v2, vcc, s16, v2
	v_cvt_f32_i32_e32 v6, s15
	v_cvt_f32_i32_e32 v7, s14
	v_addc_co_u32_e32 v3, vcc, v3, v4, vcc
	v_lshlrev_b64 v[4:5], 2, v[0:1]
	s_mul_hi_u32 s7, s2, s3
	s_mul_i32 s6, s2, s3
	v_mov_b32_e32 v8, s11
	v_add_co_u32_e32 v4, vcc, s10, v4
	v_cmp_eq_f32_e64 s[14:15], s19, 1.0
	v_addc_co_u32_e32 v5, vcc, v8, v5, vcc
	s_lshl_b64 s[10:11], s[6:7], 2
	s_mov_b64 s[16:17], 0
	v_mov_b32_e32 v8, s19
	s_mov_b32 s19, 0x3f2aaaab
	v_mov_b32_e32 v9, 0x3ecccdef
	s_mov_b32 s20, 0x3f317218
	s_movk_i32 s21, 0x204
	s_mov_b32 s22, 0x7f800000
	s_mov_b32 s23, 0x42b17218
	;; [unrolled: 1-line block ×4, first 2 shown]
	s_brev_b32 s26, -2
	v_mov_b32_e32 v10, 0x37000000
	v_mov_b32_e32 v11, 0x7f800000
	;; [unrolled: 1-line block ×3, first 2 shown]
	s_branch .LBB27_3
.LBB27_2:                               ;   in Loop: Header=BB27_3 Depth=1
	s_or_b64 exec, exec, s[0:1]
	v_cndmask_b32_e64 v15, v13, 1.0, s[14:15]
	v_cmp_neq_f32_e32 vcc, 0, v15
	v_cndmask_b32_e32 v16, 1.0, v8, vcc
	v_frexp_mant_f32_e64 v13, |v16|
	v_cmp_gt_f32_e32 vcc, s19, v13
	v_cndmask_b32_e64 v14, 1.0, 2.0, vcc
	v_mul_f32_e32 v13, v13, v14
	v_add_f32_e32 v17, 1.0, v13
	v_add_f32_e32 v18, -1.0, v17
	v_add_f32_e32 v14, -1.0, v13
	v_sub_f32_e32 v13, v13, v18
	v_rcp_f32_e32 v18, v17
	v_cmp_gt_f32_e64 s[2:3], 0, v16
	v_cmp_lt_f32_e64 s[4:5], |v16|, 1.0
	v_mul_f32_e32 v19, v14, v18
	v_mul_f32_e32 v20, v17, v19
	v_fma_f32 v17, v19, v17, -v20
	v_fmac_f32_e32 v17, v19, v13
	v_add_f32_e32 v13, v20, v17
	v_sub_f32_e32 v21, v14, v13
	v_sub_f32_e32 v20, v13, v20
	v_sub_f32_e32 v14, v14, v21
	v_sub_f32_e32 v13, v14, v13
	v_sub_f32_e32 v14, v20, v17
	v_add_f32_e32 v13, v14, v13
	v_add_f32_e32 v13, v21, v13
	v_mul_f32_e32 v13, v18, v13
	v_add_f32_e32 v17, v19, v13
	v_sub_f32_e32 v14, v17, v19
	v_sub_f32_e32 v18, v13, v14
	v_mul_f32_e32 v13, v17, v17
	v_fma_f32 v14, v17, v17, -v13
	v_add_f32_e32 v19, v18, v18
	v_fmac_f32_e32 v14, v17, v19
	v_add_f32_e32 v19, v13, v14
	v_sub_f32_e32 v13, v19, v13
	v_sub_f32_e32 v13, v14, v13
	v_mul_f32_e32 v14, v17, v19
	v_fma_f32 v21, v19, v17, -v14
	v_fmac_f32_e32 v21, v19, v18
	v_mov_b32_e32 v20, 0x3e91f4c4
	v_fmac_f32_e32 v21, v13, v17
	v_fmac_f32_e32 v20, 0x3e76c4e1, v19
	v_add_f32_e32 v22, v14, v21
	v_fma_f32 v20, v19, v20, v9
	v_sub_f32_e32 v14, v22, v14
	v_sub_f32_e32 v14, v21, v14
	v_mul_f32_e32 v21, v19, v20
	v_fma_f32 v19, v19, v20, -v21
	v_fmac_f32_e32 v19, v13, v20
	v_add_f32_e32 v13, v21, v19
	v_add_f32_e32 v20, 0x3f2aaaaa, v13
	v_sub_f32_e32 v21, v13, v21
	v_sub_f32_e32 v19, v19, v21
	v_add_f32_e32 v21, 0xbf2aaaaa, v20
	v_add_f32_e32 v19, 0x31739010, v19
	v_sub_f32_e32 v13, v13, v21
	v_add_f32_e32 v13, v19, v13
	v_add_f32_e32 v19, v20, v13
	v_sub_f32_e32 v20, v20, v19
	v_add_f32_e32 v13, v13, v20
	v_mul_f32_e32 v20, v22, v19
	v_fma_f32 v21, v22, v19, -v20
	v_fmac_f32_e32 v21, v22, v13
	v_fmac_f32_e32 v21, v14, v19
	v_cvt_f64_f32_e64 v[13:14], |v16|
	v_ldexp_f32 v17, v17, 1
	v_frexp_exp_i32_f64_e32 v13, v[13:14]
	v_subbrev_co_u32_e32 v13, vcc, 0, v13, vcc
	v_cvt_f32_i32_e32 v13, v13
	v_mul_f32_e32 v14, 0x3f317218, v13
	v_fma_f32 v19, v13, s20, -v14
	v_fmac_f32_e32 v19, 0xb102e308, v13
	v_ldexp_f32 v13, v18, 1
	v_add_f32_e32 v18, v14, v19
	v_sub_f32_e32 v14, v18, v14
	v_sub_f32_e32 v14, v19, v14
	v_add_f32_e32 v19, v20, v21
	v_sub_f32_e32 v20, v19, v20
	v_sub_f32_e32 v20, v21, v20
	;; [unrolled: 3-line block ×3, first 2 shown]
	v_add_f32_e32 v13, v13, v20
	v_add_f32_e32 v13, v13, v17
	;; [unrolled: 1-line block ×3, first 2 shown]
	v_sub_f32_e32 v19, v17, v21
	v_sub_f32_e32 v13, v13, v19
	v_add_f32_e32 v19, v18, v17
	v_sub_f32_e32 v20, v19, v18
	v_sub_f32_e32 v21, v19, v20
	;; [unrolled: 1-line block ×4, first 2 shown]
	v_add_f32_e32 v17, v17, v18
	v_add_f32_e32 v18, v14, v13
	v_sub_f32_e32 v20, v18, v14
	v_sub_f32_e32 v21, v18, v20
	;; [unrolled: 1-line block ×4, first 2 shown]
	v_add_f32_e32 v13, v13, v14
	v_add_f32_e32 v14, v18, v17
	;; [unrolled: 1-line block ×3, first 2 shown]
	v_sub_f32_e32 v18, v17, v19
	v_sub_f32_e32 v14, v14, v18
	v_add_f32_e32 v13, v13, v14
	v_add_f32_e32 v14, v17, v13
	v_sub_f32_e32 v17, v14, v17
	v_sub_f32_e32 v13, v13, v17
	v_mul_f32_e32 v17, v15, v14
	v_fma_f32 v14, v15, v14, -v17
	v_fmac_f32_e32 v14, v15, v13
	v_add_f32_e32 v13, v17, v14
	v_cmp_class_f32_e64 vcc, v17, s21
	v_sub_f32_e32 v18, v13, v17
	v_cndmask_b32_e32 v13, v13, v17, vcc
	v_sub_f32_e32 v14, v14, v18
	v_cmp_neq_f32_e64 vcc, |v13|, s22
	v_cndmask_b32_e32 v14, 0, v14, vcc
	v_cmp_eq_f32_e32 vcc, s23, v13
	v_cndmask_b32_e32 v17, 0, v10, vcc
	v_sub_f32_e32 v13, v13, v17
	v_add_f32_e32 v14, v17, v14
	v_mul_f32_e32 v17, 0x3fb8aa3b, v13
	v_fma_f32 v18, v13, s24, -v17
	v_rndne_f32_e32 v19, v17
	v_fmac_f32_e32 v18, 0x32a5705f, v13
	v_sub_f32_e32 v17, v17, v19
	v_add_f32_e32 v17, v17, v18
	v_exp_f32_e32 v17, v17
	v_cvt_i32_f32_e32 v18, v19
	v_cmp_ngt_f32_e32 vcc, s25, v13
	v_ldexp_f32 v17, v17, v18
	v_cndmask_b32_e32 v17, 0, v17, vcc
	v_cmp_nlt_f32_e32 vcc, s23, v13
	v_cndmask_b32_e32 v13, v11, v17, vcc
	v_fma_f32 v14, v13, v14, v13
	v_cmp_class_f32_e64 vcc, v13, s21
	v_cndmask_b32_e32 v13, v14, v13, vcc
	v_trunc_f32_e32 v14, v15
	v_cmp_eq_f32_e32 vcc, v14, v15
	v_mul_f32_e32 v14, 0.5, v15
	v_trunc_f32_e32 v17, v14
	v_cmp_neq_f32_e64 s[0:1], v17, v14
	s_and_b64 s[0:1], vcc, s[0:1]
	v_cndmask_b32_e64 v14, 1.0, v16, s[0:1]
	v_bfi_b32 v13, s26, v13, v14
	v_cndmask_b32_e32 v14, v12, v13, vcc
	v_cndmask_b32_e64 v13, v13, v14, s[2:3]
	v_cmp_neq_f32_e64 s[2:3], v15, |v15|
	s_xor_b64 s[2:3], s[2:3], s[4:5]
	v_cndmask_b32_e64 v14, v11, 0, s[2:3]
	v_cmp_neq_f32_e64 s[2:3], |v16|, 1.0
	v_cmp_class_f32_e64 vcc, v15, s21
	v_cndmask_b32_e64 v14, 1.0, v14, s[2:3]
	v_cndmask_b32_e32 v13, v13, v14, vcc
	v_cmp_eq_f32_e32 vcc, 0, v16
	v_cmp_gt_f32_e64 s[4:5], 0, v15
	s_xor_b64 s[4:5], s[4:5], vcc
	v_cmp_class_f32_e64 s[2:3], v16, s21
	v_cndmask_b32_e64 v14, v11, 0, s[4:5]
	v_cndmask_b32_e64 v17, 0, v16, s[0:1]
	s_or_b64 s[2:3], vcc, s[2:3]
	v_bfi_b32 v14, s26, v14, v17
	v_cndmask_b32_e64 v13, v13, v14, s[2:3]
	v_cmp_o_f32_e32 vcc, v16, v15
	v_cndmask_b32_e32 v13, v12, v13, vcc
	v_cvt_i32_f32_e32 v13, v13
	v_add_co_u32_e32 v0, vcc, s6, v0
	global_store_dword v[4:5], v13, off
	v_mov_b32_e32 v13, s7
	v_addc_co_u32_e32 v1, vcc, v1, v13, vcc
	v_subrev_co_u32_e32 v2, vcc, s6, v2
	v_subb_co_u32_e32 v3, vcc, v3, v13, vcc
	v_add_co_u32_e32 v4, vcc, s10, v4
	v_mov_b32_e32 v13, s11
	v_addc_co_u32_e32 v5, vcc, v5, v13, vcc
	v_cmp_le_i64_e32 vcc, s[12:13], v[0:1]
	s_or_b64 s[16:17], vcc, s[16:17]
	s_andn2_b64 exec, exec, s[16:17]
	s_cbranch_execz .LBB27_7
.LBB27_3:                               ; =>This Inner Loop Header: Depth=1
	v_cmp_le_i64_e32 vcc, s[8:9], v[0:1]
                                        ; implicit-def: $vgpr13
	s_and_saveexec_b64 s[0:1], vcc
	s_xor_b64 s[0:1], exec, s[0:1]
	s_cbranch_execz .LBB27_5
; %bb.4:                                ;   in Loop: Header=BB27_3 Depth=1
	v_xor_b32_e32 v14, v2, v3
	v_ffbh_i32_e32 v13, v3
	v_ashrrev_i32_e32 v14, 31, v14
	v_add_u32_e32 v13, -1, v13
	v_add_u32_e32 v14, 32, v14
	v_min_u32_e32 v15, v13, v14
	v_lshlrev_b64 v[13:14], v15, v[2:3]
	v_min_u32_e32 v13, 1, v13
	v_or_b32_e32 v13, v14, v13
	v_cvt_f32_i32_e32 v13, v13
	v_sub_u32_e32 v14, 32, v15
	v_ldexp_f32 v13, v13, v14
	v_fma_f32 v13, -s18, v13, v6
.LBB27_5:                               ;   in Loop: Header=BB27_3 Depth=1
	s_andn2_saveexec_b64 s[0:1], s[0:1]
	s_cbranch_execz .LBB27_2
; %bb.6:                                ;   in Loop: Header=BB27_3 Depth=1
	v_ffbh_u32_e32 v13, v1
	v_min_u32_e32 v15, 32, v13
	v_lshlrev_b64 v[13:14], v15, v[0:1]
	v_min_u32_e32 v13, 1, v13
	v_or_b32_e32 v13, v14, v13
	v_cvt_f32_u32_e32 v13, v13
	v_sub_u32_e32 v14, 32, v15
	v_ldexp_f32 v13, v13, v14
	v_fma_f32 v13, s18, v13, v7
	s_branch .LBB27_2
.LBB27_7:
	s_endpgm
	.section	.rodata,"a",@progbits
	.p2align	6, 0x0
	.amdhsa_kernel _ZN12_GLOBAL__N_141elementwise_kernel_with_index_grid_strideIlZZZN2at6native17logspace_cuda_outERKN3c106ScalarES6_ldRNS1_6TensorEENKUlvE_clEvENKUlvE1_clEvEUllE_EEvT_T0_PN15function_traitsISD_E11result_typeE
		.amdhsa_group_segment_fixed_size 0
		.amdhsa_private_segment_fixed_size 0
		.amdhsa_kernarg_size 312
		.amdhsa_user_sgpr_count 6
		.amdhsa_user_sgpr_private_segment_buffer 1
		.amdhsa_user_sgpr_dispatch_ptr 0
		.amdhsa_user_sgpr_queue_ptr 0
		.amdhsa_user_sgpr_kernarg_segment_ptr 1
		.amdhsa_user_sgpr_dispatch_id 0
		.amdhsa_user_sgpr_flat_scratch_init 0
		.amdhsa_user_sgpr_private_segment_size 0
		.amdhsa_uses_dynamic_stack 0
		.amdhsa_system_sgpr_private_segment_wavefront_offset 0
		.amdhsa_system_sgpr_workgroup_id_x 1
		.amdhsa_system_sgpr_workgroup_id_y 0
		.amdhsa_system_sgpr_workgroup_id_z 0
		.amdhsa_system_sgpr_workgroup_info 0
		.amdhsa_system_vgpr_workitem_id 0
		.amdhsa_next_free_vgpr 23
		.amdhsa_next_free_sgpr 27
		.amdhsa_reserve_vcc 1
		.amdhsa_reserve_flat_scratch 0
		.amdhsa_float_round_mode_32 0
		.amdhsa_float_round_mode_16_64 0
		.amdhsa_float_denorm_mode_32 3
		.amdhsa_float_denorm_mode_16_64 3
		.amdhsa_dx10_clamp 1
		.amdhsa_ieee_mode 1
		.amdhsa_fp16_overflow 0
		.amdhsa_exception_fp_ieee_invalid_op 0
		.amdhsa_exception_fp_denorm_src 0
		.amdhsa_exception_fp_ieee_div_zero 0
		.amdhsa_exception_fp_ieee_overflow 0
		.amdhsa_exception_fp_ieee_underflow 0
		.amdhsa_exception_fp_ieee_inexact 0
		.amdhsa_exception_int_div_zero 0
	.end_amdhsa_kernel
	.section	.text._ZN12_GLOBAL__N_141elementwise_kernel_with_index_grid_strideIlZZZN2at6native17logspace_cuda_outERKN3c106ScalarES6_ldRNS1_6TensorEENKUlvE_clEvENKUlvE1_clEvEUllE_EEvT_T0_PN15function_traitsISD_E11result_typeE,"axG",@progbits,_ZN12_GLOBAL__N_141elementwise_kernel_with_index_grid_strideIlZZZN2at6native17logspace_cuda_outERKN3c106ScalarES6_ldRNS1_6TensorEENKUlvE_clEvENKUlvE1_clEvEUllE_EEvT_T0_PN15function_traitsISD_E11result_typeE,comdat
.Lfunc_end27:
	.size	_ZN12_GLOBAL__N_141elementwise_kernel_with_index_grid_strideIlZZZN2at6native17logspace_cuda_outERKN3c106ScalarES6_ldRNS1_6TensorEENKUlvE_clEvENKUlvE1_clEvEUllE_EEvT_T0_PN15function_traitsISD_E11result_typeE, .Lfunc_end27-_ZN12_GLOBAL__N_141elementwise_kernel_with_index_grid_strideIlZZZN2at6native17logspace_cuda_outERKN3c106ScalarES6_ldRNS1_6TensorEENKUlvE_clEvENKUlvE1_clEvEUllE_EEvT_T0_PN15function_traitsISD_E11result_typeE
                                        ; -- End function
	.set _ZN12_GLOBAL__N_141elementwise_kernel_with_index_grid_strideIlZZZN2at6native17logspace_cuda_outERKN3c106ScalarES6_ldRNS1_6TensorEENKUlvE_clEvENKUlvE1_clEvEUllE_EEvT_T0_PN15function_traitsISD_E11result_typeE.num_vgpr, 23
	.set _ZN12_GLOBAL__N_141elementwise_kernel_with_index_grid_strideIlZZZN2at6native17logspace_cuda_outERKN3c106ScalarES6_ldRNS1_6TensorEENKUlvE_clEvENKUlvE1_clEvEUllE_EEvT_T0_PN15function_traitsISD_E11result_typeE.num_agpr, 0
	.set _ZN12_GLOBAL__N_141elementwise_kernel_with_index_grid_strideIlZZZN2at6native17logspace_cuda_outERKN3c106ScalarES6_ldRNS1_6TensorEENKUlvE_clEvENKUlvE1_clEvEUllE_EEvT_T0_PN15function_traitsISD_E11result_typeE.numbered_sgpr, 27
	.set _ZN12_GLOBAL__N_141elementwise_kernel_with_index_grid_strideIlZZZN2at6native17logspace_cuda_outERKN3c106ScalarES6_ldRNS1_6TensorEENKUlvE_clEvENKUlvE1_clEvEUllE_EEvT_T0_PN15function_traitsISD_E11result_typeE.num_named_barrier, 0
	.set _ZN12_GLOBAL__N_141elementwise_kernel_with_index_grid_strideIlZZZN2at6native17logspace_cuda_outERKN3c106ScalarES6_ldRNS1_6TensorEENKUlvE_clEvENKUlvE1_clEvEUllE_EEvT_T0_PN15function_traitsISD_E11result_typeE.private_seg_size, 0
	.set _ZN12_GLOBAL__N_141elementwise_kernel_with_index_grid_strideIlZZZN2at6native17logspace_cuda_outERKN3c106ScalarES6_ldRNS1_6TensorEENKUlvE_clEvENKUlvE1_clEvEUllE_EEvT_T0_PN15function_traitsISD_E11result_typeE.uses_vcc, 1
	.set _ZN12_GLOBAL__N_141elementwise_kernel_with_index_grid_strideIlZZZN2at6native17logspace_cuda_outERKN3c106ScalarES6_ldRNS1_6TensorEENKUlvE_clEvENKUlvE1_clEvEUllE_EEvT_T0_PN15function_traitsISD_E11result_typeE.uses_flat_scratch, 0
	.set _ZN12_GLOBAL__N_141elementwise_kernel_with_index_grid_strideIlZZZN2at6native17logspace_cuda_outERKN3c106ScalarES6_ldRNS1_6TensorEENKUlvE_clEvENKUlvE1_clEvEUllE_EEvT_T0_PN15function_traitsISD_E11result_typeE.has_dyn_sized_stack, 0
	.set _ZN12_GLOBAL__N_141elementwise_kernel_with_index_grid_strideIlZZZN2at6native17logspace_cuda_outERKN3c106ScalarES6_ldRNS1_6TensorEENKUlvE_clEvENKUlvE1_clEvEUllE_EEvT_T0_PN15function_traitsISD_E11result_typeE.has_recursion, 0
	.set _ZN12_GLOBAL__N_141elementwise_kernel_with_index_grid_strideIlZZZN2at6native17logspace_cuda_outERKN3c106ScalarES6_ldRNS1_6TensorEENKUlvE_clEvENKUlvE1_clEvEUllE_EEvT_T0_PN15function_traitsISD_E11result_typeE.has_indirect_call, 0
	.section	.AMDGPU.csdata,"",@progbits
; Kernel info:
; codeLenInByte = 1340
; TotalNumSgprs: 31
; NumVgprs: 23
; ScratchSize: 0
; MemoryBound: 0
; FloatMode: 240
; IeeeMode: 1
; LDSByteSize: 0 bytes/workgroup (compile time only)
; SGPRBlocks: 3
; VGPRBlocks: 5
; NumSGPRsForWavesPerEU: 31
; NumVGPRsForWavesPerEU: 23
; Occupancy: 10
; WaveLimiterHint : 0
; COMPUTE_PGM_RSRC2:SCRATCH_EN: 0
; COMPUTE_PGM_RSRC2:USER_SGPR: 6
; COMPUTE_PGM_RSRC2:TRAP_HANDLER: 0
; COMPUTE_PGM_RSRC2:TGID_X_EN: 1
; COMPUTE_PGM_RSRC2:TGID_Y_EN: 0
; COMPUTE_PGM_RSRC2:TGID_Z_EN: 0
; COMPUTE_PGM_RSRC2:TIDIG_COMP_CNT: 0
	.section	.text._ZN12_GLOBAL__N_141elementwise_kernel_with_index_grid_strideIiZZZN2at6native17logspace_cuda_outERKN3c106ScalarES6_ldRNS1_6TensorEENKUlvE_clEvENKUlvE2_clEvEUllE_EEvT_T0_PN15function_traitsISD_E11result_typeE,"axG",@progbits,_ZN12_GLOBAL__N_141elementwise_kernel_with_index_grid_strideIiZZZN2at6native17logspace_cuda_outERKN3c106ScalarES6_ldRNS1_6TensorEENKUlvE_clEvENKUlvE2_clEvEUllE_EEvT_T0_PN15function_traitsISD_E11result_typeE,comdat
	.globl	_ZN12_GLOBAL__N_141elementwise_kernel_with_index_grid_strideIiZZZN2at6native17logspace_cuda_outERKN3c106ScalarES6_ldRNS1_6TensorEENKUlvE_clEvENKUlvE2_clEvEUllE_EEvT_T0_PN15function_traitsISD_E11result_typeE ; -- Begin function _ZN12_GLOBAL__N_141elementwise_kernel_with_index_grid_strideIiZZZN2at6native17logspace_cuda_outERKN3c106ScalarES6_ldRNS1_6TensorEENKUlvE_clEvENKUlvE2_clEvEUllE_EEvT_T0_PN15function_traitsISD_E11result_typeE
	.p2align	8
	.type	_ZN12_GLOBAL__N_141elementwise_kernel_with_index_grid_strideIiZZZN2at6native17logspace_cuda_outERKN3c106ScalarES6_ldRNS1_6TensorEENKUlvE_clEvENKUlvE2_clEvEUllE_EEvT_T0_PN15function_traitsISD_E11result_typeE,@function
_ZN12_GLOBAL__N_141elementwise_kernel_with_index_grid_strideIiZZZN2at6native17logspace_cuda_outERKN3c106ScalarES6_ldRNS1_6TensorEENKUlvE_clEvENKUlvE2_clEvEUllE_EEvT_T0_PN15function_traitsISD_E11result_typeE: ; @_ZN12_GLOBAL__N_141elementwise_kernel_with_index_grid_strideIiZZZN2at6native17logspace_cuda_outERKN3c106ScalarES6_ldRNS1_6TensorEENKUlvE_clEvENKUlvE2_clEvEUllE_EEvT_T0_PN15function_traitsISD_E11result_typeE
; %bb.0:
	s_load_dword s2, s[4:5], 0x4c
	s_load_dword s16, s[4:5], 0x0
	s_add_u32 s0, s4, 64
	s_addc_u32 s1, s5, 0
	s_waitcnt lgkmcnt(0)
	s_and_b32 s2, s2, 0xffff
	s_mul_i32 s6, s6, s2
	v_add_u32_e32 v0, s6, v0
	v_cmp_gt_i32_e32 vcc, s16, v0
	s_and_saveexec_b64 s[6:7], vcc
	s_cbranch_execz .LBB28_7
; %bb.1:
	s_load_dword s3, s[0:1], 0x0
	s_load_dwordx4 s[12:15], s[4:5], 0x8
	s_load_dword s20, s[4:5], 0x18
	s_load_dwordx2 s[18:19], s[4:5], 0x20
	s_load_dword s17, s[4:5], 0x28
	s_load_dwordx4 s[8:11], s[4:5], 0x30
	s_waitcnt lgkmcnt(0)
	s_xor_b32 s1, s14, s15
	s_flbit_i32 s0, s15
	s_ashr_i32 s1, s1, 31
	s_add_i32 s0, s0, -1
	s_add_i32 s1, s1, 32
	s_mul_i32 s6, s3, s2
	s_min_u32 s2, s0, s1
	s_lshl_b64 s[0:1], s[14:15], s2
	s_min_u32 s0, s0, 1
	s_or_b32 s0, s1, s0
	s_xor_b32 s1, s12, s13
	v_cvt_f32_i32_e32 v1, s0
	s_flbit_i32 s0, s13
	s_ashr_i32 s1, s1, 31
	s_add_i32 s0, s0, -1
	s_add_i32 s1, s1, 32
	s_min_u32 s3, s0, s1
	s_lshl_b64 s[0:1], s[12:13], s3
	s_min_u32 s0, s0, 1
	s_or_b32 s0, s1, s0
	v_cvt_f32_i32_e32 v2, s0
	s_sub_i32 s0, 32, s2
	v_ldexp_f32 v6, v1, s0
	s_sub_i32 s0, 32, s3
	v_ldexp_f32 v7, v2, s0
	v_ashrrev_i32_e32 v1, 31, v0
	v_not_b32_e32 v2, v0
	v_not_b32_e32 v3, v1
	v_mov_b32_e32 v4, s19
	v_add_co_u32_e32 v2, vcc, s18, v2
	v_addc_co_u32_e32 v3, vcc, v3, v4, vcc
	v_lshlrev_b64 v[4:5], 3, v[0:1]
	s_ashr_i32 s7, s6, 31
	v_mov_b32_e32 v8, s11
	v_add_co_u32_e32 v4, vcc, s10, v4
	v_cmp_eq_f32_e64 s[12:13], s20, 1.0
	v_addc_co_u32_e32 v5, vcc, v8, v5, vcc
	s_lshl_b64 s[10:11], s[6:7], 3
	s_mov_b64 s[14:15], 0
	v_mov_b32_e32 v8, s20
	s_mov_b32 s18, 0x3f2aaaab
	v_mov_b32_e32 v9, 0x3ecccdef
	s_mov_b32 s19, 0x3f317218
	s_movk_i32 s20, 0x204
	s_mov_b32 s21, 0x7f800000
	s_mov_b32 s22, 0x42b17218
	;; [unrolled: 1-line block ×4, first 2 shown]
	s_brev_b32 s25, -2
	s_mov_b32 s26, 0x2f800000
	s_mov_b32 s27, 0xcf800000
	v_mov_b32_e32 v10, 0x37000000
	v_mov_b32_e32 v11, 0x7f800000
	v_mov_b32_e32 v12, 0x7fc00000
	s_branch .LBB28_3
.LBB28_2:                               ;   in Loop: Header=BB28_3 Depth=1
	s_or_b64 exec, exec, s[0:1]
	v_cndmask_b32_e64 v15, v13, 1.0, s[12:13]
	v_cmp_neq_f32_e32 vcc, 0, v15
	v_cndmask_b32_e32 v16, 1.0, v8, vcc
	v_frexp_mant_f32_e64 v13, |v16|
	v_cmp_gt_f32_e32 vcc, s18, v13
	v_cndmask_b32_e64 v14, 1.0, 2.0, vcc
	v_mul_f32_e32 v13, v13, v14
	v_add_f32_e32 v17, 1.0, v13
	v_add_f32_e32 v18, -1.0, v17
	v_add_f32_e32 v14, -1.0, v13
	v_sub_f32_e32 v13, v13, v18
	v_rcp_f32_e32 v18, v17
	v_cmp_gt_f32_e64 s[2:3], 0, v16
	v_cmp_lt_f32_e64 s[4:5], |v16|, 1.0
	v_mul_f32_e32 v19, v14, v18
	v_mul_f32_e32 v20, v17, v19
	v_fma_f32 v17, v19, v17, -v20
	v_fmac_f32_e32 v17, v19, v13
	v_add_f32_e32 v13, v20, v17
	v_sub_f32_e32 v21, v14, v13
	v_sub_f32_e32 v20, v13, v20
	v_sub_f32_e32 v14, v14, v21
	v_sub_f32_e32 v13, v14, v13
	v_sub_f32_e32 v14, v20, v17
	v_add_f32_e32 v13, v14, v13
	v_add_f32_e32 v13, v21, v13
	v_mul_f32_e32 v13, v18, v13
	v_add_f32_e32 v17, v19, v13
	v_sub_f32_e32 v14, v17, v19
	v_sub_f32_e32 v18, v13, v14
	v_mul_f32_e32 v13, v17, v17
	v_fma_f32 v14, v17, v17, -v13
	v_add_f32_e32 v19, v18, v18
	v_fmac_f32_e32 v14, v17, v19
	v_add_f32_e32 v19, v13, v14
	v_sub_f32_e32 v13, v19, v13
	v_sub_f32_e32 v13, v14, v13
	v_mul_f32_e32 v14, v17, v19
	v_fma_f32 v21, v19, v17, -v14
	v_fmac_f32_e32 v21, v19, v18
	v_mov_b32_e32 v20, 0x3e91f4c4
	v_fmac_f32_e32 v21, v13, v17
	v_fmac_f32_e32 v20, 0x3e76c4e1, v19
	v_add_f32_e32 v22, v14, v21
	v_fma_f32 v20, v19, v20, v9
	v_sub_f32_e32 v14, v22, v14
	v_sub_f32_e32 v14, v21, v14
	v_mul_f32_e32 v21, v19, v20
	v_fma_f32 v19, v19, v20, -v21
	v_fmac_f32_e32 v19, v13, v20
	v_add_f32_e32 v13, v21, v19
	v_add_f32_e32 v20, 0x3f2aaaaa, v13
	v_sub_f32_e32 v21, v13, v21
	v_sub_f32_e32 v19, v19, v21
	v_add_f32_e32 v21, 0xbf2aaaaa, v20
	v_add_f32_e32 v19, 0x31739010, v19
	v_sub_f32_e32 v13, v13, v21
	v_add_f32_e32 v13, v19, v13
	v_add_f32_e32 v19, v20, v13
	v_sub_f32_e32 v20, v20, v19
	v_add_f32_e32 v13, v13, v20
	v_mul_f32_e32 v20, v22, v19
	v_fma_f32 v21, v22, v19, -v20
	v_fmac_f32_e32 v21, v22, v13
	v_fmac_f32_e32 v21, v14, v19
	v_cvt_f64_f32_e64 v[13:14], |v16|
	v_ldexp_f32 v17, v17, 1
	v_frexp_exp_i32_f64_e32 v13, v[13:14]
	v_subbrev_co_u32_e32 v13, vcc, 0, v13, vcc
	v_cvt_f32_i32_e32 v13, v13
	v_mul_f32_e32 v14, 0x3f317218, v13
	v_fma_f32 v19, v13, s19, -v14
	v_fmac_f32_e32 v19, 0xb102e308, v13
	v_ldexp_f32 v13, v18, 1
	v_add_f32_e32 v18, v14, v19
	v_sub_f32_e32 v14, v18, v14
	v_sub_f32_e32 v14, v19, v14
	v_add_f32_e32 v19, v20, v21
	v_sub_f32_e32 v20, v19, v20
	v_sub_f32_e32 v20, v21, v20
	;; [unrolled: 3-line block ×3, first 2 shown]
	v_add_f32_e32 v13, v13, v20
	v_add_f32_e32 v13, v13, v17
	;; [unrolled: 1-line block ×3, first 2 shown]
	v_sub_f32_e32 v19, v17, v21
	v_sub_f32_e32 v13, v13, v19
	v_add_f32_e32 v19, v18, v17
	v_sub_f32_e32 v20, v19, v18
	v_sub_f32_e32 v21, v19, v20
	;; [unrolled: 1-line block ×4, first 2 shown]
	v_add_f32_e32 v17, v17, v18
	v_add_f32_e32 v18, v14, v13
	v_sub_f32_e32 v20, v18, v14
	v_sub_f32_e32 v21, v18, v20
	;; [unrolled: 1-line block ×4, first 2 shown]
	v_add_f32_e32 v13, v13, v14
	v_add_f32_e32 v14, v18, v17
	;; [unrolled: 1-line block ×3, first 2 shown]
	v_sub_f32_e32 v18, v17, v19
	v_sub_f32_e32 v14, v14, v18
	v_add_f32_e32 v13, v13, v14
	v_add_f32_e32 v14, v17, v13
	v_sub_f32_e32 v17, v14, v17
	v_sub_f32_e32 v13, v13, v17
	v_mul_f32_e32 v17, v15, v14
	v_fma_f32 v14, v15, v14, -v17
	v_fmac_f32_e32 v14, v15, v13
	v_add_f32_e32 v13, v17, v14
	v_cmp_class_f32_e64 vcc, v17, s20
	v_sub_f32_e32 v18, v13, v17
	v_cndmask_b32_e32 v13, v13, v17, vcc
	v_sub_f32_e32 v14, v14, v18
	v_cmp_neq_f32_e64 vcc, |v13|, s21
	v_cndmask_b32_e32 v14, 0, v14, vcc
	v_cmp_eq_f32_e32 vcc, s22, v13
	v_cndmask_b32_e32 v17, 0, v10, vcc
	v_sub_f32_e32 v13, v13, v17
	v_add_f32_e32 v14, v17, v14
	v_mul_f32_e32 v17, 0x3fb8aa3b, v13
	v_fma_f32 v18, v13, s23, -v17
	v_rndne_f32_e32 v19, v17
	v_fmac_f32_e32 v18, 0x32a5705f, v13
	v_sub_f32_e32 v17, v17, v19
	v_add_f32_e32 v17, v17, v18
	v_exp_f32_e32 v17, v17
	v_cvt_i32_f32_e32 v18, v19
	v_cmp_ngt_f32_e32 vcc, s24, v13
	v_ldexp_f32 v17, v17, v18
	v_cndmask_b32_e32 v17, 0, v17, vcc
	v_cmp_nlt_f32_e32 vcc, s22, v13
	v_cndmask_b32_e32 v13, v11, v17, vcc
	v_fma_f32 v14, v13, v14, v13
	v_cmp_class_f32_e64 vcc, v13, s20
	v_cndmask_b32_e32 v13, v14, v13, vcc
	v_trunc_f32_e32 v14, v15
	v_cmp_eq_f32_e32 vcc, v14, v15
	v_mul_f32_e32 v14, 0.5, v15
	v_trunc_f32_e32 v17, v14
	v_cmp_neq_f32_e64 s[0:1], v17, v14
	s_and_b64 s[0:1], vcc, s[0:1]
	v_cndmask_b32_e64 v14, 1.0, v16, s[0:1]
	v_bfi_b32 v13, s25, v13, v14
	v_cndmask_b32_e32 v14, v12, v13, vcc
	v_cndmask_b32_e64 v13, v13, v14, s[2:3]
	v_cmp_neq_f32_e64 s[2:3], v15, |v15|
	s_xor_b64 s[2:3], s[2:3], s[4:5]
	v_cndmask_b32_e64 v14, v11, 0, s[2:3]
	v_cmp_neq_f32_e64 s[2:3], |v16|, 1.0
	v_cmp_class_f32_e64 vcc, v15, s20
	v_cndmask_b32_e64 v14, 1.0, v14, s[2:3]
	v_cndmask_b32_e32 v13, v13, v14, vcc
	v_cmp_eq_f32_e32 vcc, 0, v16
	v_cmp_gt_f32_e64 s[4:5], 0, v15
	s_xor_b64 s[4:5], s[4:5], vcc
	v_cmp_class_f32_e64 s[2:3], v16, s20
	v_cndmask_b32_e64 v14, v11, 0, s[4:5]
	v_cndmask_b32_e64 v17, 0, v16, s[0:1]
	s_or_b64 s[2:3], vcc, s[2:3]
	v_bfi_b32 v14, s25, v14, v17
	v_cndmask_b32_e64 v13, v13, v14, s[2:3]
	v_cmp_o_f32_e32 vcc, v16, v15
	v_cndmask_b32_e32 v13, v12, v13, vcc
	v_trunc_f32_e32 v13, v13
	v_mul_f32_e64 v14, |v13|, s26
	v_floor_f32_e32 v14, v14
	v_fma_f32 v15, v14, s27, |v13|
	v_cvt_u32_f32_e32 v15, v15
	v_cvt_u32_f32_e32 v14, v14
	v_ashrrev_i32_e32 v16, 31, v13
	v_xor_b32_e32 v13, v15, v16
	v_xor_b32_e32 v14, v14, v16
	v_sub_co_u32_e32 v13, vcc, v13, v16
	v_subb_co_u32_e32 v14, vcc, v14, v16, vcc
	global_store_dwordx2 v[4:5], v[13:14], off
	v_add_co_u32_e32 v0, vcc, s6, v0
	v_mov_b32_e32 v13, s7
	v_addc_co_u32_e32 v1, vcc, v1, v13, vcc
	v_subrev_co_u32_e32 v2, vcc, s6, v2
	v_subb_co_u32_e32 v3, vcc, v3, v13, vcc
	v_add_co_u32_e32 v4, vcc, s10, v4
	v_mov_b32_e32 v13, s11
	v_addc_co_u32_e32 v5, vcc, v5, v13, vcc
	v_cmp_le_i32_e32 vcc, s16, v0
	s_or_b64 s[14:15], vcc, s[14:15]
	s_andn2_b64 exec, exec, s[14:15]
	s_cbranch_execz .LBB28_7
.LBB28_3:                               ; =>This Inner Loop Header: Depth=1
	v_cmp_le_i64_e32 vcc, s[8:9], v[0:1]
                                        ; implicit-def: $vgpr13
	s_and_saveexec_b64 s[0:1], vcc
	s_xor_b64 s[0:1], exec, s[0:1]
	s_cbranch_execz .LBB28_5
; %bb.4:                                ;   in Loop: Header=BB28_3 Depth=1
	v_xor_b32_e32 v14, v2, v3
	v_ffbh_i32_e32 v13, v3
	v_ashrrev_i32_e32 v14, 31, v14
	v_add_u32_e32 v13, -1, v13
	v_add_u32_e32 v14, 32, v14
	v_min_u32_e32 v15, v13, v14
	v_lshlrev_b64 v[13:14], v15, v[2:3]
	v_min_u32_e32 v13, 1, v13
	v_or_b32_e32 v13, v14, v13
	v_cvt_f32_i32_e32 v13, v13
	v_sub_u32_e32 v14, 32, v15
	v_ldexp_f32 v13, v13, v14
	v_fma_f32 v13, -s17, v13, v6
.LBB28_5:                               ;   in Loop: Header=BB28_3 Depth=1
	s_andn2_saveexec_b64 s[0:1], s[0:1]
	s_cbranch_execz .LBB28_2
; %bb.6:                                ;   in Loop: Header=BB28_3 Depth=1
	v_cvt_f32_i32_e32 v13, v0
	v_fma_f32 v13, s17, v13, v7
	s_branch .LBB28_2
.LBB28_7:
	s_endpgm
	.section	.rodata,"a",@progbits
	.p2align	6, 0x0
	.amdhsa_kernel _ZN12_GLOBAL__N_141elementwise_kernel_with_index_grid_strideIiZZZN2at6native17logspace_cuda_outERKN3c106ScalarES6_ldRNS1_6TensorEENKUlvE_clEvENKUlvE2_clEvEUllE_EEvT_T0_PN15function_traitsISD_E11result_typeE
		.amdhsa_group_segment_fixed_size 0
		.amdhsa_private_segment_fixed_size 0
		.amdhsa_kernarg_size 320
		.amdhsa_user_sgpr_count 6
		.amdhsa_user_sgpr_private_segment_buffer 1
		.amdhsa_user_sgpr_dispatch_ptr 0
		.amdhsa_user_sgpr_queue_ptr 0
		.amdhsa_user_sgpr_kernarg_segment_ptr 1
		.amdhsa_user_sgpr_dispatch_id 0
		.amdhsa_user_sgpr_flat_scratch_init 0
		.amdhsa_user_sgpr_private_segment_size 0
		.amdhsa_uses_dynamic_stack 0
		.amdhsa_system_sgpr_private_segment_wavefront_offset 0
		.amdhsa_system_sgpr_workgroup_id_x 1
		.amdhsa_system_sgpr_workgroup_id_y 0
		.amdhsa_system_sgpr_workgroup_id_z 0
		.amdhsa_system_sgpr_workgroup_info 0
		.amdhsa_system_vgpr_workitem_id 0
		.amdhsa_next_free_vgpr 23
		.amdhsa_next_free_sgpr 28
		.amdhsa_reserve_vcc 1
		.amdhsa_reserve_flat_scratch 0
		.amdhsa_float_round_mode_32 0
		.amdhsa_float_round_mode_16_64 0
		.amdhsa_float_denorm_mode_32 3
		.amdhsa_float_denorm_mode_16_64 3
		.amdhsa_dx10_clamp 1
		.amdhsa_ieee_mode 1
		.amdhsa_fp16_overflow 0
		.amdhsa_exception_fp_ieee_invalid_op 0
		.amdhsa_exception_fp_denorm_src 0
		.amdhsa_exception_fp_ieee_div_zero 0
		.amdhsa_exception_fp_ieee_overflow 0
		.amdhsa_exception_fp_ieee_underflow 0
		.amdhsa_exception_fp_ieee_inexact 0
		.amdhsa_exception_int_div_zero 0
	.end_amdhsa_kernel
	.section	.text._ZN12_GLOBAL__N_141elementwise_kernel_with_index_grid_strideIiZZZN2at6native17logspace_cuda_outERKN3c106ScalarES6_ldRNS1_6TensorEENKUlvE_clEvENKUlvE2_clEvEUllE_EEvT_T0_PN15function_traitsISD_E11result_typeE,"axG",@progbits,_ZN12_GLOBAL__N_141elementwise_kernel_with_index_grid_strideIiZZZN2at6native17logspace_cuda_outERKN3c106ScalarES6_ldRNS1_6TensorEENKUlvE_clEvENKUlvE2_clEvEUllE_EEvT_T0_PN15function_traitsISD_E11result_typeE,comdat
.Lfunc_end28:
	.size	_ZN12_GLOBAL__N_141elementwise_kernel_with_index_grid_strideIiZZZN2at6native17logspace_cuda_outERKN3c106ScalarES6_ldRNS1_6TensorEENKUlvE_clEvENKUlvE2_clEvEUllE_EEvT_T0_PN15function_traitsISD_E11result_typeE, .Lfunc_end28-_ZN12_GLOBAL__N_141elementwise_kernel_with_index_grid_strideIiZZZN2at6native17logspace_cuda_outERKN3c106ScalarES6_ldRNS1_6TensorEENKUlvE_clEvENKUlvE2_clEvEUllE_EEvT_T0_PN15function_traitsISD_E11result_typeE
                                        ; -- End function
	.set _ZN12_GLOBAL__N_141elementwise_kernel_with_index_grid_strideIiZZZN2at6native17logspace_cuda_outERKN3c106ScalarES6_ldRNS1_6TensorEENKUlvE_clEvENKUlvE2_clEvEUllE_EEvT_T0_PN15function_traitsISD_E11result_typeE.num_vgpr, 23
	.set _ZN12_GLOBAL__N_141elementwise_kernel_with_index_grid_strideIiZZZN2at6native17logspace_cuda_outERKN3c106ScalarES6_ldRNS1_6TensorEENKUlvE_clEvENKUlvE2_clEvEUllE_EEvT_T0_PN15function_traitsISD_E11result_typeE.num_agpr, 0
	.set _ZN12_GLOBAL__N_141elementwise_kernel_with_index_grid_strideIiZZZN2at6native17logspace_cuda_outERKN3c106ScalarES6_ldRNS1_6TensorEENKUlvE_clEvENKUlvE2_clEvEUllE_EEvT_T0_PN15function_traitsISD_E11result_typeE.numbered_sgpr, 28
	.set _ZN12_GLOBAL__N_141elementwise_kernel_with_index_grid_strideIiZZZN2at6native17logspace_cuda_outERKN3c106ScalarES6_ldRNS1_6TensorEENKUlvE_clEvENKUlvE2_clEvEUllE_EEvT_T0_PN15function_traitsISD_E11result_typeE.num_named_barrier, 0
	.set _ZN12_GLOBAL__N_141elementwise_kernel_with_index_grid_strideIiZZZN2at6native17logspace_cuda_outERKN3c106ScalarES6_ldRNS1_6TensorEENKUlvE_clEvENKUlvE2_clEvEUllE_EEvT_T0_PN15function_traitsISD_E11result_typeE.private_seg_size, 0
	.set _ZN12_GLOBAL__N_141elementwise_kernel_with_index_grid_strideIiZZZN2at6native17logspace_cuda_outERKN3c106ScalarES6_ldRNS1_6TensorEENKUlvE_clEvENKUlvE2_clEvEUllE_EEvT_T0_PN15function_traitsISD_E11result_typeE.uses_vcc, 1
	.set _ZN12_GLOBAL__N_141elementwise_kernel_with_index_grid_strideIiZZZN2at6native17logspace_cuda_outERKN3c106ScalarES6_ldRNS1_6TensorEENKUlvE_clEvENKUlvE2_clEvEUllE_EEvT_T0_PN15function_traitsISD_E11result_typeE.uses_flat_scratch, 0
	.set _ZN12_GLOBAL__N_141elementwise_kernel_with_index_grid_strideIiZZZN2at6native17logspace_cuda_outERKN3c106ScalarES6_ldRNS1_6TensorEENKUlvE_clEvENKUlvE2_clEvEUllE_EEvT_T0_PN15function_traitsISD_E11result_typeE.has_dyn_sized_stack, 0
	.set _ZN12_GLOBAL__N_141elementwise_kernel_with_index_grid_strideIiZZZN2at6native17logspace_cuda_outERKN3c106ScalarES6_ldRNS1_6TensorEENKUlvE_clEvENKUlvE2_clEvEUllE_EEvT_T0_PN15function_traitsISD_E11result_typeE.has_recursion, 0
	.set _ZN12_GLOBAL__N_141elementwise_kernel_with_index_grid_strideIiZZZN2at6native17logspace_cuda_outERKN3c106ScalarES6_ldRNS1_6TensorEENKUlvE_clEvENKUlvE2_clEvEUllE_EEvT_T0_PN15function_traitsISD_E11result_typeE.has_indirect_call, 0
	.section	.AMDGPU.csdata,"",@progbits
; Kernel info:
; codeLenInByte = 1460
; TotalNumSgprs: 32
; NumVgprs: 23
; ScratchSize: 0
; MemoryBound: 0
; FloatMode: 240
; IeeeMode: 1
; LDSByteSize: 0 bytes/workgroup (compile time only)
; SGPRBlocks: 3
; VGPRBlocks: 5
; NumSGPRsForWavesPerEU: 32
; NumVGPRsForWavesPerEU: 23
; Occupancy: 10
; WaveLimiterHint : 0
; COMPUTE_PGM_RSRC2:SCRATCH_EN: 0
; COMPUTE_PGM_RSRC2:USER_SGPR: 6
; COMPUTE_PGM_RSRC2:TRAP_HANDLER: 0
; COMPUTE_PGM_RSRC2:TGID_X_EN: 1
; COMPUTE_PGM_RSRC2:TGID_Y_EN: 0
; COMPUTE_PGM_RSRC2:TGID_Z_EN: 0
; COMPUTE_PGM_RSRC2:TIDIG_COMP_CNT: 0
	.section	.text._ZN12_GLOBAL__N_141elementwise_kernel_with_index_grid_strideIlZZZN2at6native17logspace_cuda_outERKN3c106ScalarES6_ldRNS1_6TensorEENKUlvE_clEvENKUlvE2_clEvEUllE_EEvT_T0_PN15function_traitsISD_E11result_typeE,"axG",@progbits,_ZN12_GLOBAL__N_141elementwise_kernel_with_index_grid_strideIlZZZN2at6native17logspace_cuda_outERKN3c106ScalarES6_ldRNS1_6TensorEENKUlvE_clEvENKUlvE2_clEvEUllE_EEvT_T0_PN15function_traitsISD_E11result_typeE,comdat
	.globl	_ZN12_GLOBAL__N_141elementwise_kernel_with_index_grid_strideIlZZZN2at6native17logspace_cuda_outERKN3c106ScalarES6_ldRNS1_6TensorEENKUlvE_clEvENKUlvE2_clEvEUllE_EEvT_T0_PN15function_traitsISD_E11result_typeE ; -- Begin function _ZN12_GLOBAL__N_141elementwise_kernel_with_index_grid_strideIlZZZN2at6native17logspace_cuda_outERKN3c106ScalarES6_ldRNS1_6TensorEENKUlvE_clEvENKUlvE2_clEvEUllE_EEvT_T0_PN15function_traitsISD_E11result_typeE
	.p2align	8
	.type	_ZN12_GLOBAL__N_141elementwise_kernel_with_index_grid_strideIlZZZN2at6native17logspace_cuda_outERKN3c106ScalarES6_ldRNS1_6TensorEENKUlvE_clEvENKUlvE2_clEvEUllE_EEvT_T0_PN15function_traitsISD_E11result_typeE,@function
_ZN12_GLOBAL__N_141elementwise_kernel_with_index_grid_strideIlZZZN2at6native17logspace_cuda_outERKN3c106ScalarES6_ldRNS1_6TensorEENKUlvE_clEvENKUlvE2_clEvEUllE_EEvT_T0_PN15function_traitsISD_E11result_typeE: ; @_ZN12_GLOBAL__N_141elementwise_kernel_with_index_grid_strideIlZZZN2at6native17logspace_cuda_outERKN3c106ScalarES6_ldRNS1_6TensorEENKUlvE_clEvENKUlvE2_clEvEUllE_EEvT_T0_PN15function_traitsISD_E11result_typeE
; %bb.0:
	s_load_dword s2, s[4:5], 0x4c
	s_load_dwordx2 s[12:13], s[4:5], 0x0
	s_add_u32 s0, s4, 64
	s_addc_u32 s1, s5, 0
	v_mov_b32_e32 v1, 0
	s_waitcnt lgkmcnt(0)
	s_and_b32 s2, s2, 0xffff
	v_mov_b32_e32 v2, s6
	v_mad_u64_u32 v[0:1], s[6:7], s2, v2, v[0:1]
	v_cmp_gt_i64_e32 vcc, s[12:13], v[0:1]
	s_and_saveexec_b64 s[6:7], vcc
	s_cbranch_execz .LBB29_7
; %bb.1:
	s_load_dword s3, s[0:1], 0x0
	s_load_dwordx4 s[20:23], s[4:5], 0x8
	s_load_dword s19, s[4:5], 0x18
	s_load_dwordx2 s[16:17], s[4:5], 0x20
	s_load_dword s18, s[4:5], 0x28
	s_load_dwordx4 s[8:11], s[4:5], 0x30
	s_waitcnt lgkmcnt(0)
	s_xor_b32 s1, s22, s23
	s_flbit_i32 s0, s23
	s_ashr_i32 s1, s1, 31
	s_add_i32 s0, s0, -1
	s_add_i32 s1, s1, 32
	s_mul_hi_u32 s7, s2, s3
	s_mul_i32 s6, s2, s3
	s_min_u32 s2, s0, s1
	s_lshl_b64 s[0:1], s[22:23], s2
	s_min_u32 s0, s0, 1
	s_or_b32 s0, s1, s0
	s_xor_b32 s1, s20, s21
	v_cvt_f32_i32_e32 v2, s0
	s_flbit_i32 s0, s21
	s_ashr_i32 s1, s1, 31
	s_add_i32 s0, s0, -1
	s_add_i32 s1, s1, 32
	s_min_u32 s3, s0, s1
	s_lshl_b64 s[0:1], s[20:21], s3
	s_min_u32 s0, s0, 1
	s_or_b32 s0, s1, s0
	v_cvt_f32_i32_e32 v3, s0
	s_sub_i32 s0, 32, s2
	v_ldexp_f32 v6, v2, s0
	s_sub_i32 s0, 32, s3
	v_not_b32_e32 v2, v0
	v_ldexp_f32 v7, v3, s0
	v_not_b32_e32 v3, v1
	v_mov_b32_e32 v4, s17
	v_add_co_u32_e32 v2, vcc, s16, v2
	v_addc_co_u32_e32 v3, vcc, v3, v4, vcc
	v_lshlrev_b64 v[4:5], 3, v[0:1]
	v_mov_b32_e32 v8, s11
	v_add_co_u32_e32 v4, vcc, s10, v4
	v_cmp_eq_f32_e64 s[14:15], s19, 1.0
	v_addc_co_u32_e32 v5, vcc, v8, v5, vcc
	s_lshl_b64 s[10:11], s[6:7], 3
	s_mov_b64 s[16:17], 0
	v_mov_b32_e32 v8, s19
	s_mov_b32 s19, 0x3f2aaaab
	v_mov_b32_e32 v9, 0x3ecccdef
	s_mov_b32 s20, 0x3f317218
	s_movk_i32 s21, 0x204
	s_mov_b32 s22, 0x7f800000
	s_mov_b32 s23, 0x42b17218
	;; [unrolled: 1-line block ×4, first 2 shown]
	s_brev_b32 s26, -2
	s_mov_b32 s27, 0x2f800000
	s_mov_b32 s28, 0xcf800000
	v_mov_b32_e32 v10, 0x37000000
	v_mov_b32_e32 v11, 0x7f800000
	;; [unrolled: 1-line block ×3, first 2 shown]
	s_branch .LBB29_3
.LBB29_2:                               ;   in Loop: Header=BB29_3 Depth=1
	s_or_b64 exec, exec, s[0:1]
	v_cndmask_b32_e64 v15, v13, 1.0, s[14:15]
	v_cmp_neq_f32_e32 vcc, 0, v15
	v_cndmask_b32_e32 v16, 1.0, v8, vcc
	v_frexp_mant_f32_e64 v13, |v16|
	v_cmp_gt_f32_e32 vcc, s19, v13
	v_cndmask_b32_e64 v14, 1.0, 2.0, vcc
	v_mul_f32_e32 v13, v13, v14
	v_add_f32_e32 v17, 1.0, v13
	v_add_f32_e32 v18, -1.0, v17
	v_add_f32_e32 v14, -1.0, v13
	v_sub_f32_e32 v13, v13, v18
	v_rcp_f32_e32 v18, v17
	v_cmp_gt_f32_e64 s[2:3], 0, v16
	v_cmp_lt_f32_e64 s[4:5], |v16|, 1.0
	v_mul_f32_e32 v19, v14, v18
	v_mul_f32_e32 v20, v17, v19
	v_fma_f32 v17, v19, v17, -v20
	v_fmac_f32_e32 v17, v19, v13
	v_add_f32_e32 v13, v20, v17
	v_sub_f32_e32 v21, v14, v13
	v_sub_f32_e32 v20, v13, v20
	;; [unrolled: 1-line block ×5, first 2 shown]
	v_add_f32_e32 v13, v14, v13
	v_add_f32_e32 v13, v21, v13
	v_mul_f32_e32 v13, v18, v13
	v_add_f32_e32 v17, v19, v13
	v_sub_f32_e32 v14, v17, v19
	v_sub_f32_e32 v18, v13, v14
	v_mul_f32_e32 v13, v17, v17
	v_fma_f32 v14, v17, v17, -v13
	v_add_f32_e32 v19, v18, v18
	v_fmac_f32_e32 v14, v17, v19
	v_add_f32_e32 v19, v13, v14
	v_sub_f32_e32 v13, v19, v13
	v_sub_f32_e32 v13, v14, v13
	v_mul_f32_e32 v14, v17, v19
	v_fma_f32 v21, v19, v17, -v14
	v_fmac_f32_e32 v21, v19, v18
	v_mov_b32_e32 v20, 0x3e91f4c4
	v_fmac_f32_e32 v21, v13, v17
	v_fmac_f32_e32 v20, 0x3e76c4e1, v19
	v_add_f32_e32 v22, v14, v21
	v_fma_f32 v20, v19, v20, v9
	v_sub_f32_e32 v14, v22, v14
	v_sub_f32_e32 v14, v21, v14
	v_mul_f32_e32 v21, v19, v20
	v_fma_f32 v19, v19, v20, -v21
	v_fmac_f32_e32 v19, v13, v20
	v_add_f32_e32 v13, v21, v19
	v_add_f32_e32 v20, 0x3f2aaaaa, v13
	v_sub_f32_e32 v21, v13, v21
	v_sub_f32_e32 v19, v19, v21
	v_add_f32_e32 v21, 0xbf2aaaaa, v20
	v_add_f32_e32 v19, 0x31739010, v19
	v_sub_f32_e32 v13, v13, v21
	v_add_f32_e32 v13, v19, v13
	v_add_f32_e32 v19, v20, v13
	v_sub_f32_e32 v20, v20, v19
	v_add_f32_e32 v13, v13, v20
	v_mul_f32_e32 v20, v22, v19
	v_fma_f32 v21, v22, v19, -v20
	v_fmac_f32_e32 v21, v22, v13
	v_fmac_f32_e32 v21, v14, v19
	v_cvt_f64_f32_e64 v[13:14], |v16|
	v_ldexp_f32 v17, v17, 1
	v_frexp_exp_i32_f64_e32 v13, v[13:14]
	v_subbrev_co_u32_e32 v13, vcc, 0, v13, vcc
	v_cvt_f32_i32_e32 v13, v13
	v_mul_f32_e32 v14, 0x3f317218, v13
	v_fma_f32 v19, v13, s20, -v14
	v_fmac_f32_e32 v19, 0xb102e308, v13
	v_ldexp_f32 v13, v18, 1
	v_add_f32_e32 v18, v14, v19
	v_sub_f32_e32 v14, v18, v14
	v_sub_f32_e32 v14, v19, v14
	v_add_f32_e32 v19, v20, v21
	v_sub_f32_e32 v20, v19, v20
	v_sub_f32_e32 v20, v21, v20
	;; [unrolled: 3-line block ×3, first 2 shown]
	v_add_f32_e32 v13, v13, v20
	v_add_f32_e32 v13, v13, v17
	;; [unrolled: 1-line block ×3, first 2 shown]
	v_sub_f32_e32 v19, v17, v21
	v_sub_f32_e32 v13, v13, v19
	v_add_f32_e32 v19, v18, v17
	v_sub_f32_e32 v20, v19, v18
	v_sub_f32_e32 v21, v19, v20
	;; [unrolled: 1-line block ×4, first 2 shown]
	v_add_f32_e32 v17, v17, v18
	v_add_f32_e32 v18, v14, v13
	v_sub_f32_e32 v20, v18, v14
	v_sub_f32_e32 v21, v18, v20
	;; [unrolled: 1-line block ×4, first 2 shown]
	v_add_f32_e32 v13, v13, v14
	v_add_f32_e32 v14, v18, v17
	;; [unrolled: 1-line block ×3, first 2 shown]
	v_sub_f32_e32 v18, v17, v19
	v_sub_f32_e32 v14, v14, v18
	v_add_f32_e32 v13, v13, v14
	v_add_f32_e32 v14, v17, v13
	v_sub_f32_e32 v17, v14, v17
	v_sub_f32_e32 v13, v13, v17
	v_mul_f32_e32 v17, v15, v14
	v_fma_f32 v14, v15, v14, -v17
	v_fmac_f32_e32 v14, v15, v13
	v_add_f32_e32 v13, v17, v14
	v_cmp_class_f32_e64 vcc, v17, s21
	v_sub_f32_e32 v18, v13, v17
	v_cndmask_b32_e32 v13, v13, v17, vcc
	v_sub_f32_e32 v14, v14, v18
	v_cmp_neq_f32_e64 vcc, |v13|, s22
	v_cndmask_b32_e32 v14, 0, v14, vcc
	v_cmp_eq_f32_e32 vcc, s23, v13
	v_cndmask_b32_e32 v17, 0, v10, vcc
	v_sub_f32_e32 v13, v13, v17
	v_add_f32_e32 v14, v17, v14
	v_mul_f32_e32 v17, 0x3fb8aa3b, v13
	v_fma_f32 v18, v13, s24, -v17
	v_rndne_f32_e32 v19, v17
	v_fmac_f32_e32 v18, 0x32a5705f, v13
	v_sub_f32_e32 v17, v17, v19
	v_add_f32_e32 v17, v17, v18
	v_exp_f32_e32 v17, v17
	v_cvt_i32_f32_e32 v18, v19
	v_cmp_ngt_f32_e32 vcc, s25, v13
	v_ldexp_f32 v17, v17, v18
	v_cndmask_b32_e32 v17, 0, v17, vcc
	v_cmp_nlt_f32_e32 vcc, s23, v13
	v_cndmask_b32_e32 v13, v11, v17, vcc
	v_fma_f32 v14, v13, v14, v13
	v_cmp_class_f32_e64 vcc, v13, s21
	v_cndmask_b32_e32 v13, v14, v13, vcc
	v_trunc_f32_e32 v14, v15
	v_cmp_eq_f32_e32 vcc, v14, v15
	v_mul_f32_e32 v14, 0.5, v15
	v_trunc_f32_e32 v17, v14
	v_cmp_neq_f32_e64 s[0:1], v17, v14
	s_and_b64 s[0:1], vcc, s[0:1]
	v_cndmask_b32_e64 v14, 1.0, v16, s[0:1]
	v_bfi_b32 v13, s26, v13, v14
	v_cndmask_b32_e32 v14, v12, v13, vcc
	v_cndmask_b32_e64 v13, v13, v14, s[2:3]
	v_cmp_neq_f32_e64 s[2:3], v15, |v15|
	s_xor_b64 s[2:3], s[2:3], s[4:5]
	v_cndmask_b32_e64 v14, v11, 0, s[2:3]
	v_cmp_neq_f32_e64 s[2:3], |v16|, 1.0
	v_cmp_class_f32_e64 vcc, v15, s21
	v_cndmask_b32_e64 v14, 1.0, v14, s[2:3]
	v_cndmask_b32_e32 v13, v13, v14, vcc
	v_cmp_eq_f32_e32 vcc, 0, v16
	v_cmp_gt_f32_e64 s[4:5], 0, v15
	s_xor_b64 s[4:5], s[4:5], vcc
	v_cmp_class_f32_e64 s[2:3], v16, s21
	v_cndmask_b32_e64 v14, v11, 0, s[4:5]
	v_cndmask_b32_e64 v17, 0, v16, s[0:1]
	s_or_b64 s[2:3], vcc, s[2:3]
	v_bfi_b32 v14, s26, v14, v17
	v_cndmask_b32_e64 v13, v13, v14, s[2:3]
	v_cmp_o_f32_e32 vcc, v16, v15
	v_cndmask_b32_e32 v13, v12, v13, vcc
	v_trunc_f32_e32 v13, v13
	v_mul_f32_e64 v14, |v13|, s27
	v_floor_f32_e32 v14, v14
	v_fma_f32 v15, v14, s28, |v13|
	v_cvt_u32_f32_e32 v15, v15
	v_cvt_u32_f32_e32 v14, v14
	v_ashrrev_i32_e32 v16, 31, v13
	v_xor_b32_e32 v13, v15, v16
	v_xor_b32_e32 v14, v14, v16
	v_sub_co_u32_e32 v13, vcc, v13, v16
	v_subb_co_u32_e32 v14, vcc, v14, v16, vcc
	global_store_dwordx2 v[4:5], v[13:14], off
	v_add_co_u32_e32 v0, vcc, s6, v0
	v_mov_b32_e32 v13, s7
	v_addc_co_u32_e32 v1, vcc, v1, v13, vcc
	v_subrev_co_u32_e32 v2, vcc, s6, v2
	v_subb_co_u32_e32 v3, vcc, v3, v13, vcc
	v_add_co_u32_e32 v4, vcc, s10, v4
	v_mov_b32_e32 v13, s11
	v_addc_co_u32_e32 v5, vcc, v5, v13, vcc
	v_cmp_le_i64_e32 vcc, s[12:13], v[0:1]
	s_or_b64 s[16:17], vcc, s[16:17]
	s_andn2_b64 exec, exec, s[16:17]
	s_cbranch_execz .LBB29_7
.LBB29_3:                               ; =>This Inner Loop Header: Depth=1
	v_cmp_le_i64_e32 vcc, s[8:9], v[0:1]
                                        ; implicit-def: $vgpr13
	s_and_saveexec_b64 s[0:1], vcc
	s_xor_b64 s[0:1], exec, s[0:1]
	s_cbranch_execz .LBB29_5
; %bb.4:                                ;   in Loop: Header=BB29_3 Depth=1
	v_xor_b32_e32 v14, v2, v3
	v_ffbh_i32_e32 v13, v3
	v_ashrrev_i32_e32 v14, 31, v14
	v_add_u32_e32 v13, -1, v13
	v_add_u32_e32 v14, 32, v14
	v_min_u32_e32 v15, v13, v14
	v_lshlrev_b64 v[13:14], v15, v[2:3]
	v_min_u32_e32 v13, 1, v13
	v_or_b32_e32 v13, v14, v13
	v_cvt_f32_i32_e32 v13, v13
	v_sub_u32_e32 v14, 32, v15
	v_ldexp_f32 v13, v13, v14
	v_fma_f32 v13, -s18, v13, v6
.LBB29_5:                               ;   in Loop: Header=BB29_3 Depth=1
	s_andn2_saveexec_b64 s[0:1], s[0:1]
	s_cbranch_execz .LBB29_2
; %bb.6:                                ;   in Loop: Header=BB29_3 Depth=1
	v_ffbh_u32_e32 v13, v1
	v_min_u32_e32 v15, 32, v13
	v_lshlrev_b64 v[13:14], v15, v[0:1]
	v_min_u32_e32 v13, 1, v13
	v_or_b32_e32 v13, v14, v13
	v_cvt_f32_u32_e32 v13, v13
	v_sub_u32_e32 v14, 32, v15
	v_ldexp_f32 v13, v13, v14
	v_fma_f32 v13, s18, v13, v7
	s_branch .LBB29_2
.LBB29_7:
	s_endpgm
	.section	.rodata,"a",@progbits
	.p2align	6, 0x0
	.amdhsa_kernel _ZN12_GLOBAL__N_141elementwise_kernel_with_index_grid_strideIlZZZN2at6native17logspace_cuda_outERKN3c106ScalarES6_ldRNS1_6TensorEENKUlvE_clEvENKUlvE2_clEvEUllE_EEvT_T0_PN15function_traitsISD_E11result_typeE
		.amdhsa_group_segment_fixed_size 0
		.amdhsa_private_segment_fixed_size 0
		.amdhsa_kernarg_size 320
		.amdhsa_user_sgpr_count 6
		.amdhsa_user_sgpr_private_segment_buffer 1
		.amdhsa_user_sgpr_dispatch_ptr 0
		.amdhsa_user_sgpr_queue_ptr 0
		.amdhsa_user_sgpr_kernarg_segment_ptr 1
		.amdhsa_user_sgpr_dispatch_id 0
		.amdhsa_user_sgpr_flat_scratch_init 0
		.amdhsa_user_sgpr_private_segment_size 0
		.amdhsa_uses_dynamic_stack 0
		.amdhsa_system_sgpr_private_segment_wavefront_offset 0
		.amdhsa_system_sgpr_workgroup_id_x 1
		.amdhsa_system_sgpr_workgroup_id_y 0
		.amdhsa_system_sgpr_workgroup_id_z 0
		.amdhsa_system_sgpr_workgroup_info 0
		.amdhsa_system_vgpr_workitem_id 0
		.amdhsa_next_free_vgpr 23
		.amdhsa_next_free_sgpr 29
		.amdhsa_reserve_vcc 1
		.amdhsa_reserve_flat_scratch 0
		.amdhsa_float_round_mode_32 0
		.amdhsa_float_round_mode_16_64 0
		.amdhsa_float_denorm_mode_32 3
		.amdhsa_float_denorm_mode_16_64 3
		.amdhsa_dx10_clamp 1
		.amdhsa_ieee_mode 1
		.amdhsa_fp16_overflow 0
		.amdhsa_exception_fp_ieee_invalid_op 0
		.amdhsa_exception_fp_denorm_src 0
		.amdhsa_exception_fp_ieee_div_zero 0
		.amdhsa_exception_fp_ieee_overflow 0
		.amdhsa_exception_fp_ieee_underflow 0
		.amdhsa_exception_fp_ieee_inexact 0
		.amdhsa_exception_int_div_zero 0
	.end_amdhsa_kernel
	.section	.text._ZN12_GLOBAL__N_141elementwise_kernel_with_index_grid_strideIlZZZN2at6native17logspace_cuda_outERKN3c106ScalarES6_ldRNS1_6TensorEENKUlvE_clEvENKUlvE2_clEvEUllE_EEvT_T0_PN15function_traitsISD_E11result_typeE,"axG",@progbits,_ZN12_GLOBAL__N_141elementwise_kernel_with_index_grid_strideIlZZZN2at6native17logspace_cuda_outERKN3c106ScalarES6_ldRNS1_6TensorEENKUlvE_clEvENKUlvE2_clEvEUllE_EEvT_T0_PN15function_traitsISD_E11result_typeE,comdat
.Lfunc_end29:
	.size	_ZN12_GLOBAL__N_141elementwise_kernel_with_index_grid_strideIlZZZN2at6native17logspace_cuda_outERKN3c106ScalarES6_ldRNS1_6TensorEENKUlvE_clEvENKUlvE2_clEvEUllE_EEvT_T0_PN15function_traitsISD_E11result_typeE, .Lfunc_end29-_ZN12_GLOBAL__N_141elementwise_kernel_with_index_grid_strideIlZZZN2at6native17logspace_cuda_outERKN3c106ScalarES6_ldRNS1_6TensorEENKUlvE_clEvENKUlvE2_clEvEUllE_EEvT_T0_PN15function_traitsISD_E11result_typeE
                                        ; -- End function
	.set _ZN12_GLOBAL__N_141elementwise_kernel_with_index_grid_strideIlZZZN2at6native17logspace_cuda_outERKN3c106ScalarES6_ldRNS1_6TensorEENKUlvE_clEvENKUlvE2_clEvEUllE_EEvT_T0_PN15function_traitsISD_E11result_typeE.num_vgpr, 23
	.set _ZN12_GLOBAL__N_141elementwise_kernel_with_index_grid_strideIlZZZN2at6native17logspace_cuda_outERKN3c106ScalarES6_ldRNS1_6TensorEENKUlvE_clEvENKUlvE2_clEvEUllE_EEvT_T0_PN15function_traitsISD_E11result_typeE.num_agpr, 0
	.set _ZN12_GLOBAL__N_141elementwise_kernel_with_index_grid_strideIlZZZN2at6native17logspace_cuda_outERKN3c106ScalarES6_ldRNS1_6TensorEENKUlvE_clEvENKUlvE2_clEvEUllE_EEvT_T0_PN15function_traitsISD_E11result_typeE.numbered_sgpr, 29
	.set _ZN12_GLOBAL__N_141elementwise_kernel_with_index_grid_strideIlZZZN2at6native17logspace_cuda_outERKN3c106ScalarES6_ldRNS1_6TensorEENKUlvE_clEvENKUlvE2_clEvEUllE_EEvT_T0_PN15function_traitsISD_E11result_typeE.num_named_barrier, 0
	.set _ZN12_GLOBAL__N_141elementwise_kernel_with_index_grid_strideIlZZZN2at6native17logspace_cuda_outERKN3c106ScalarES6_ldRNS1_6TensorEENKUlvE_clEvENKUlvE2_clEvEUllE_EEvT_T0_PN15function_traitsISD_E11result_typeE.private_seg_size, 0
	.set _ZN12_GLOBAL__N_141elementwise_kernel_with_index_grid_strideIlZZZN2at6native17logspace_cuda_outERKN3c106ScalarES6_ldRNS1_6TensorEENKUlvE_clEvENKUlvE2_clEvEUllE_EEvT_T0_PN15function_traitsISD_E11result_typeE.uses_vcc, 1
	.set _ZN12_GLOBAL__N_141elementwise_kernel_with_index_grid_strideIlZZZN2at6native17logspace_cuda_outERKN3c106ScalarES6_ldRNS1_6TensorEENKUlvE_clEvENKUlvE2_clEvEUllE_EEvT_T0_PN15function_traitsISD_E11result_typeE.uses_flat_scratch, 0
	.set _ZN12_GLOBAL__N_141elementwise_kernel_with_index_grid_strideIlZZZN2at6native17logspace_cuda_outERKN3c106ScalarES6_ldRNS1_6TensorEENKUlvE_clEvENKUlvE2_clEvEUllE_EEvT_T0_PN15function_traitsISD_E11result_typeE.has_dyn_sized_stack, 0
	.set _ZN12_GLOBAL__N_141elementwise_kernel_with_index_grid_strideIlZZZN2at6native17logspace_cuda_outERKN3c106ScalarES6_ldRNS1_6TensorEENKUlvE_clEvENKUlvE2_clEvEUllE_EEvT_T0_PN15function_traitsISD_E11result_typeE.has_recursion, 0
	.set _ZN12_GLOBAL__N_141elementwise_kernel_with_index_grid_strideIlZZZN2at6native17logspace_cuda_outERKN3c106ScalarES6_ldRNS1_6TensorEENKUlvE_clEvENKUlvE2_clEvEUllE_EEvT_T0_PN15function_traitsISD_E11result_typeE.has_indirect_call, 0
	.section	.AMDGPU.csdata,"",@progbits
; Kernel info:
; codeLenInByte = 1500
; TotalNumSgprs: 33
; NumVgprs: 23
; ScratchSize: 0
; MemoryBound: 0
; FloatMode: 240
; IeeeMode: 1
; LDSByteSize: 0 bytes/workgroup (compile time only)
; SGPRBlocks: 4
; VGPRBlocks: 5
; NumSGPRsForWavesPerEU: 33
; NumVGPRsForWavesPerEU: 23
; Occupancy: 10
; WaveLimiterHint : 0
; COMPUTE_PGM_RSRC2:SCRATCH_EN: 0
; COMPUTE_PGM_RSRC2:USER_SGPR: 6
; COMPUTE_PGM_RSRC2:TRAP_HANDLER: 0
; COMPUTE_PGM_RSRC2:TGID_X_EN: 1
; COMPUTE_PGM_RSRC2:TGID_Y_EN: 0
; COMPUTE_PGM_RSRC2:TGID_Z_EN: 0
; COMPUTE_PGM_RSRC2:TIDIG_COMP_CNT: 0
	.section	.text._ZN12_GLOBAL__N_141elementwise_kernel_with_index_grid_strideIiZZZN2at6native17logspace_cuda_outERKN3c106ScalarES6_ldRNS1_6TensorEENKUlvE_clEvENKUlvE3_clEvEUllE_EEvT_T0_PN15function_traitsISD_E11result_typeE,"axG",@progbits,_ZN12_GLOBAL__N_141elementwise_kernel_with_index_grid_strideIiZZZN2at6native17logspace_cuda_outERKN3c106ScalarES6_ldRNS1_6TensorEENKUlvE_clEvENKUlvE3_clEvEUllE_EEvT_T0_PN15function_traitsISD_E11result_typeE,comdat
	.globl	_ZN12_GLOBAL__N_141elementwise_kernel_with_index_grid_strideIiZZZN2at6native17logspace_cuda_outERKN3c106ScalarES6_ldRNS1_6TensorEENKUlvE_clEvENKUlvE3_clEvEUllE_EEvT_T0_PN15function_traitsISD_E11result_typeE ; -- Begin function _ZN12_GLOBAL__N_141elementwise_kernel_with_index_grid_strideIiZZZN2at6native17logspace_cuda_outERKN3c106ScalarES6_ldRNS1_6TensorEENKUlvE_clEvENKUlvE3_clEvEUllE_EEvT_T0_PN15function_traitsISD_E11result_typeE
	.p2align	8
	.type	_ZN12_GLOBAL__N_141elementwise_kernel_with_index_grid_strideIiZZZN2at6native17logspace_cuda_outERKN3c106ScalarES6_ldRNS1_6TensorEENKUlvE_clEvENKUlvE3_clEvEUllE_EEvT_T0_PN15function_traitsISD_E11result_typeE,@function
_ZN12_GLOBAL__N_141elementwise_kernel_with_index_grid_strideIiZZZN2at6native17logspace_cuda_outERKN3c106ScalarES6_ldRNS1_6TensorEENKUlvE_clEvENKUlvE3_clEvEUllE_EEvT_T0_PN15function_traitsISD_E11result_typeE: ; @_ZN12_GLOBAL__N_141elementwise_kernel_with_index_grid_strideIiZZZN2at6native17logspace_cuda_outERKN3c106ScalarES6_ldRNS1_6TensorEENKUlvE_clEvENKUlvE3_clEvEUllE_EEvT_T0_PN15function_traitsISD_E11result_typeE
; %bb.0:
	s_load_dword s2, s[4:5], 0x3c
	s_load_dword s16, s[4:5], 0x0
	s_add_u32 s0, s4, 48
	s_addc_u32 s1, s5, 0
	s_waitcnt lgkmcnt(0)
	s_and_b32 s2, s2, 0xffff
	s_mul_i32 s6, s6, s2
	v_add_u32_e32 v0, s6, v0
	v_cmp_gt_i32_e32 vcc, s16, v0
	s_and_saveexec_b64 s[6:7], vcc
	s_cbranch_execz .LBB30_7
; %bb.1:
	s_load_dword s3, s[0:1], 0x0
	s_load_dwordx4 s[20:23], s[4:5], 0x8
	s_load_dword s17, s[4:5], 0x18
	s_load_dwordx4 s[8:11], s[4:5], 0x20
	v_ashrrev_i32_e32 v1, 31, v0
	v_not_b32_e32 v2, v0
	s_waitcnt lgkmcnt(0)
	s_ashr_i32 s0, s20, 16
	v_cvt_f32_i32_e32 v6, s0
	s_sext_i32_i16 s0, s20
	v_not_b32_e32 v3, v1
	v_mov_b32_e32 v4, s23
	v_add_co_u32_e32 v2, vcc, s22, v2
	v_cvt_f32_i32_e32 v7, s0
	v_addc_co_u32_e32 v3, vcc, v3, v4, vcc
	v_lshlrev_b64 v[4:5], 1, v[0:1]
	s_mul_i32 s6, s3, s2
	s_ashr_i32 s7, s6, 31
	v_mov_b32_e32 v8, s11
	v_add_co_u32_e32 v4, vcc, s10, v4
	v_cmp_eq_f32_e64 s[12:13], s21, 1.0
	v_addc_co_u32_e32 v5, vcc, v8, v5, vcc
	s_lshl_b64 s[10:11], s[6:7], 1
	s_mov_b64 s[14:15], 0
	v_mov_b32_e32 v8, s21
	s_mov_b32 s18, 0x3f2aaaab
	v_mov_b32_e32 v9, 0x3ecccdef
	s_mov_b32 s19, 0x3f317218
	s_movk_i32 s20, 0x204
	s_mov_b32 s21, 0x7f800000
	s_mov_b32 s22, 0x42b17218
	;; [unrolled: 1-line block ×4, first 2 shown]
	s_brev_b32 s25, -2
	v_mov_b32_e32 v10, 0x37000000
	v_mov_b32_e32 v11, 0x7f800000
	;; [unrolled: 1-line block ×3, first 2 shown]
	s_branch .LBB30_3
.LBB30_2:                               ;   in Loop: Header=BB30_3 Depth=1
	s_or_b64 exec, exec, s[0:1]
	v_cndmask_b32_e64 v15, v13, 1.0, s[12:13]
	v_cmp_neq_f32_e32 vcc, 0, v15
	v_cndmask_b32_e32 v16, 1.0, v8, vcc
	v_frexp_mant_f32_e64 v13, |v16|
	v_cmp_gt_f32_e32 vcc, s18, v13
	v_cndmask_b32_e64 v14, 1.0, 2.0, vcc
	v_mul_f32_e32 v13, v13, v14
	v_add_f32_e32 v17, 1.0, v13
	v_add_f32_e32 v18, -1.0, v17
	v_add_f32_e32 v14, -1.0, v13
	v_sub_f32_e32 v13, v13, v18
	v_rcp_f32_e32 v18, v17
	v_cmp_gt_f32_e64 s[2:3], 0, v16
	v_cmp_lt_f32_e64 s[4:5], |v16|, 1.0
	v_mul_f32_e32 v19, v14, v18
	v_mul_f32_e32 v20, v17, v19
	v_fma_f32 v17, v19, v17, -v20
	v_fmac_f32_e32 v17, v19, v13
	v_add_f32_e32 v13, v20, v17
	v_sub_f32_e32 v21, v14, v13
	v_sub_f32_e32 v20, v13, v20
	v_sub_f32_e32 v14, v14, v21
	v_sub_f32_e32 v13, v14, v13
	v_sub_f32_e32 v14, v20, v17
	v_add_f32_e32 v13, v14, v13
	v_add_f32_e32 v13, v21, v13
	v_mul_f32_e32 v13, v18, v13
	v_add_f32_e32 v17, v19, v13
	v_sub_f32_e32 v14, v17, v19
	v_sub_f32_e32 v18, v13, v14
	v_mul_f32_e32 v13, v17, v17
	v_fma_f32 v14, v17, v17, -v13
	v_add_f32_e32 v19, v18, v18
	v_fmac_f32_e32 v14, v17, v19
	v_add_f32_e32 v19, v13, v14
	v_sub_f32_e32 v13, v19, v13
	v_sub_f32_e32 v13, v14, v13
	v_mul_f32_e32 v14, v17, v19
	v_fma_f32 v21, v19, v17, -v14
	v_fmac_f32_e32 v21, v19, v18
	v_mov_b32_e32 v20, 0x3e91f4c4
	v_fmac_f32_e32 v21, v13, v17
	v_fmac_f32_e32 v20, 0x3e76c4e1, v19
	v_add_f32_e32 v22, v14, v21
	v_fma_f32 v20, v19, v20, v9
	v_sub_f32_e32 v14, v22, v14
	v_sub_f32_e32 v14, v21, v14
	v_mul_f32_e32 v21, v19, v20
	v_fma_f32 v19, v19, v20, -v21
	v_fmac_f32_e32 v19, v13, v20
	v_add_f32_e32 v13, v21, v19
	v_add_f32_e32 v20, 0x3f2aaaaa, v13
	v_sub_f32_e32 v21, v13, v21
	v_sub_f32_e32 v19, v19, v21
	v_add_f32_e32 v21, 0xbf2aaaaa, v20
	v_add_f32_e32 v19, 0x31739010, v19
	v_sub_f32_e32 v13, v13, v21
	v_add_f32_e32 v13, v19, v13
	v_add_f32_e32 v19, v20, v13
	v_sub_f32_e32 v20, v20, v19
	v_add_f32_e32 v13, v13, v20
	v_mul_f32_e32 v20, v22, v19
	v_fma_f32 v21, v22, v19, -v20
	v_fmac_f32_e32 v21, v22, v13
	v_fmac_f32_e32 v21, v14, v19
	v_cvt_f64_f32_e64 v[13:14], |v16|
	v_ldexp_f32 v17, v17, 1
	v_frexp_exp_i32_f64_e32 v13, v[13:14]
	v_subbrev_co_u32_e32 v13, vcc, 0, v13, vcc
	v_cvt_f32_i32_e32 v13, v13
	v_mul_f32_e32 v14, 0x3f317218, v13
	v_fma_f32 v19, v13, s19, -v14
	v_fmac_f32_e32 v19, 0xb102e308, v13
	v_ldexp_f32 v13, v18, 1
	v_add_f32_e32 v18, v14, v19
	v_sub_f32_e32 v14, v18, v14
	v_sub_f32_e32 v14, v19, v14
	v_add_f32_e32 v19, v20, v21
	v_sub_f32_e32 v20, v19, v20
	v_sub_f32_e32 v20, v21, v20
	;; [unrolled: 3-line block ×3, first 2 shown]
	v_add_f32_e32 v13, v13, v20
	v_add_f32_e32 v13, v13, v17
	;; [unrolled: 1-line block ×3, first 2 shown]
	v_sub_f32_e32 v19, v17, v21
	v_sub_f32_e32 v13, v13, v19
	v_add_f32_e32 v19, v18, v17
	v_sub_f32_e32 v20, v19, v18
	v_sub_f32_e32 v21, v19, v20
	;; [unrolled: 1-line block ×4, first 2 shown]
	v_add_f32_e32 v17, v17, v18
	v_add_f32_e32 v18, v14, v13
	v_sub_f32_e32 v20, v18, v14
	v_sub_f32_e32 v21, v18, v20
	;; [unrolled: 1-line block ×4, first 2 shown]
	v_add_f32_e32 v13, v13, v14
	v_add_f32_e32 v14, v18, v17
	;; [unrolled: 1-line block ×3, first 2 shown]
	v_sub_f32_e32 v18, v17, v19
	v_sub_f32_e32 v14, v14, v18
	v_add_f32_e32 v13, v13, v14
	v_add_f32_e32 v14, v17, v13
	v_sub_f32_e32 v17, v14, v17
	v_sub_f32_e32 v13, v13, v17
	v_mul_f32_e32 v17, v15, v14
	v_fma_f32 v14, v15, v14, -v17
	v_fmac_f32_e32 v14, v15, v13
	v_add_f32_e32 v13, v17, v14
	v_cmp_class_f32_e64 vcc, v17, s20
	v_sub_f32_e32 v18, v13, v17
	v_cndmask_b32_e32 v13, v13, v17, vcc
	v_sub_f32_e32 v14, v14, v18
	v_cmp_neq_f32_e64 vcc, |v13|, s21
	v_cndmask_b32_e32 v14, 0, v14, vcc
	v_cmp_eq_f32_e32 vcc, s22, v13
	v_cndmask_b32_e32 v17, 0, v10, vcc
	v_sub_f32_e32 v13, v13, v17
	v_add_f32_e32 v14, v17, v14
	v_mul_f32_e32 v17, 0x3fb8aa3b, v13
	v_fma_f32 v18, v13, s23, -v17
	v_rndne_f32_e32 v19, v17
	v_fmac_f32_e32 v18, 0x32a5705f, v13
	v_sub_f32_e32 v17, v17, v19
	v_add_f32_e32 v17, v17, v18
	v_exp_f32_e32 v17, v17
	v_cvt_i32_f32_e32 v18, v19
	v_cmp_ngt_f32_e32 vcc, s24, v13
	v_ldexp_f32 v17, v17, v18
	v_cndmask_b32_e32 v17, 0, v17, vcc
	v_cmp_nlt_f32_e32 vcc, s22, v13
	v_cndmask_b32_e32 v13, v11, v17, vcc
	v_fma_f32 v14, v13, v14, v13
	v_cmp_class_f32_e64 vcc, v13, s20
	v_cndmask_b32_e32 v13, v14, v13, vcc
	v_trunc_f32_e32 v14, v15
	v_cmp_eq_f32_e32 vcc, v14, v15
	v_mul_f32_e32 v14, 0.5, v15
	v_trunc_f32_e32 v17, v14
	v_cmp_neq_f32_e64 s[0:1], v17, v14
	s_and_b64 s[0:1], vcc, s[0:1]
	v_cndmask_b32_e64 v14, 1.0, v16, s[0:1]
	v_bfi_b32 v13, s25, v13, v14
	v_cndmask_b32_e32 v14, v12, v13, vcc
	v_cndmask_b32_e64 v13, v13, v14, s[2:3]
	v_cmp_neq_f32_e64 s[2:3], v15, |v15|
	s_xor_b64 s[2:3], s[2:3], s[4:5]
	v_cndmask_b32_e64 v14, v11, 0, s[2:3]
	v_cmp_neq_f32_e64 s[2:3], |v16|, 1.0
	v_cmp_class_f32_e64 vcc, v15, s20
	v_cndmask_b32_e64 v14, 1.0, v14, s[2:3]
	v_cndmask_b32_e32 v13, v13, v14, vcc
	v_cmp_eq_f32_e32 vcc, 0, v16
	v_cmp_gt_f32_e64 s[4:5], 0, v15
	s_xor_b64 s[4:5], s[4:5], vcc
	v_cmp_class_f32_e64 s[2:3], v16, s20
	v_cndmask_b32_e64 v14, v11, 0, s[4:5]
	v_cndmask_b32_e64 v17, 0, v16, s[0:1]
	s_or_b64 s[2:3], vcc, s[2:3]
	v_bfi_b32 v14, s25, v14, v17
	v_cndmask_b32_e64 v13, v13, v14, s[2:3]
	v_cmp_o_f32_e32 vcc, v16, v15
	v_cndmask_b32_e32 v13, v12, v13, vcc
	v_cvt_i32_f32_e32 v13, v13
	v_add_co_u32_e32 v0, vcc, s6, v0
	global_store_short v[4:5], v13, off
	v_mov_b32_e32 v13, s7
	v_addc_co_u32_e32 v1, vcc, v1, v13, vcc
	v_subrev_co_u32_e32 v2, vcc, s6, v2
	v_subb_co_u32_e32 v3, vcc, v3, v13, vcc
	v_add_co_u32_e32 v4, vcc, s10, v4
	v_mov_b32_e32 v13, s11
	v_addc_co_u32_e32 v5, vcc, v5, v13, vcc
	v_cmp_le_i32_e32 vcc, s16, v0
	s_or_b64 s[14:15], vcc, s[14:15]
	s_andn2_b64 exec, exec, s[14:15]
	s_cbranch_execz .LBB30_7
.LBB30_3:                               ; =>This Inner Loop Header: Depth=1
	v_cmp_le_i64_e32 vcc, s[8:9], v[0:1]
                                        ; implicit-def: $vgpr13
	s_and_saveexec_b64 s[0:1], vcc
	s_xor_b64 s[0:1], exec, s[0:1]
	s_cbranch_execz .LBB30_5
; %bb.4:                                ;   in Loop: Header=BB30_3 Depth=1
	v_xor_b32_e32 v14, v2, v3
	v_ffbh_i32_e32 v13, v3
	v_ashrrev_i32_e32 v14, 31, v14
	v_add_u32_e32 v13, -1, v13
	v_add_u32_e32 v14, 32, v14
	v_min_u32_e32 v15, v13, v14
	v_lshlrev_b64 v[13:14], v15, v[2:3]
	v_min_u32_e32 v13, 1, v13
	v_or_b32_e32 v13, v14, v13
	v_cvt_f32_i32_e32 v13, v13
	v_sub_u32_e32 v14, 32, v15
	v_ldexp_f32 v13, v13, v14
	v_fma_f32 v13, -s17, v13, v6
.LBB30_5:                               ;   in Loop: Header=BB30_3 Depth=1
	s_andn2_saveexec_b64 s[0:1], s[0:1]
	s_cbranch_execz .LBB30_2
; %bb.6:                                ;   in Loop: Header=BB30_3 Depth=1
	v_cvt_f32_i32_e32 v13, v0
	v_fma_f32 v13, s17, v13, v7
	s_branch .LBB30_2
.LBB30_7:
	s_endpgm
	.section	.rodata,"a",@progbits
	.p2align	6, 0x0
	.amdhsa_kernel _ZN12_GLOBAL__N_141elementwise_kernel_with_index_grid_strideIiZZZN2at6native17logspace_cuda_outERKN3c106ScalarES6_ldRNS1_6TensorEENKUlvE_clEvENKUlvE3_clEvEUllE_EEvT_T0_PN15function_traitsISD_E11result_typeE
		.amdhsa_group_segment_fixed_size 0
		.amdhsa_private_segment_fixed_size 0
		.amdhsa_kernarg_size 304
		.amdhsa_user_sgpr_count 6
		.amdhsa_user_sgpr_private_segment_buffer 1
		.amdhsa_user_sgpr_dispatch_ptr 0
		.amdhsa_user_sgpr_queue_ptr 0
		.amdhsa_user_sgpr_kernarg_segment_ptr 1
		.amdhsa_user_sgpr_dispatch_id 0
		.amdhsa_user_sgpr_flat_scratch_init 0
		.amdhsa_user_sgpr_private_segment_size 0
		.amdhsa_uses_dynamic_stack 0
		.amdhsa_system_sgpr_private_segment_wavefront_offset 0
		.amdhsa_system_sgpr_workgroup_id_x 1
		.amdhsa_system_sgpr_workgroup_id_y 0
		.amdhsa_system_sgpr_workgroup_id_z 0
		.amdhsa_system_sgpr_workgroup_info 0
		.amdhsa_system_vgpr_workitem_id 0
		.amdhsa_next_free_vgpr 23
		.amdhsa_next_free_sgpr 26
		.amdhsa_reserve_vcc 1
		.amdhsa_reserve_flat_scratch 0
		.amdhsa_float_round_mode_32 0
		.amdhsa_float_round_mode_16_64 0
		.amdhsa_float_denorm_mode_32 3
		.amdhsa_float_denorm_mode_16_64 3
		.amdhsa_dx10_clamp 1
		.amdhsa_ieee_mode 1
		.amdhsa_fp16_overflow 0
		.amdhsa_exception_fp_ieee_invalid_op 0
		.amdhsa_exception_fp_denorm_src 0
		.amdhsa_exception_fp_ieee_div_zero 0
		.amdhsa_exception_fp_ieee_overflow 0
		.amdhsa_exception_fp_ieee_underflow 0
		.amdhsa_exception_fp_ieee_inexact 0
		.amdhsa_exception_int_div_zero 0
	.end_amdhsa_kernel
	.section	.text._ZN12_GLOBAL__N_141elementwise_kernel_with_index_grid_strideIiZZZN2at6native17logspace_cuda_outERKN3c106ScalarES6_ldRNS1_6TensorEENKUlvE_clEvENKUlvE3_clEvEUllE_EEvT_T0_PN15function_traitsISD_E11result_typeE,"axG",@progbits,_ZN12_GLOBAL__N_141elementwise_kernel_with_index_grid_strideIiZZZN2at6native17logspace_cuda_outERKN3c106ScalarES6_ldRNS1_6TensorEENKUlvE_clEvENKUlvE3_clEvEUllE_EEvT_T0_PN15function_traitsISD_E11result_typeE,comdat
.Lfunc_end30:
	.size	_ZN12_GLOBAL__N_141elementwise_kernel_with_index_grid_strideIiZZZN2at6native17logspace_cuda_outERKN3c106ScalarES6_ldRNS1_6TensorEENKUlvE_clEvENKUlvE3_clEvEUllE_EEvT_T0_PN15function_traitsISD_E11result_typeE, .Lfunc_end30-_ZN12_GLOBAL__N_141elementwise_kernel_with_index_grid_strideIiZZZN2at6native17logspace_cuda_outERKN3c106ScalarES6_ldRNS1_6TensorEENKUlvE_clEvENKUlvE3_clEvEUllE_EEvT_T0_PN15function_traitsISD_E11result_typeE
                                        ; -- End function
	.set _ZN12_GLOBAL__N_141elementwise_kernel_with_index_grid_strideIiZZZN2at6native17logspace_cuda_outERKN3c106ScalarES6_ldRNS1_6TensorEENKUlvE_clEvENKUlvE3_clEvEUllE_EEvT_T0_PN15function_traitsISD_E11result_typeE.num_vgpr, 23
	.set _ZN12_GLOBAL__N_141elementwise_kernel_with_index_grid_strideIiZZZN2at6native17logspace_cuda_outERKN3c106ScalarES6_ldRNS1_6TensorEENKUlvE_clEvENKUlvE3_clEvEUllE_EEvT_T0_PN15function_traitsISD_E11result_typeE.num_agpr, 0
	.set _ZN12_GLOBAL__N_141elementwise_kernel_with_index_grid_strideIiZZZN2at6native17logspace_cuda_outERKN3c106ScalarES6_ldRNS1_6TensorEENKUlvE_clEvENKUlvE3_clEvEUllE_EEvT_T0_PN15function_traitsISD_E11result_typeE.numbered_sgpr, 26
	.set _ZN12_GLOBAL__N_141elementwise_kernel_with_index_grid_strideIiZZZN2at6native17logspace_cuda_outERKN3c106ScalarES6_ldRNS1_6TensorEENKUlvE_clEvENKUlvE3_clEvEUllE_EEvT_T0_PN15function_traitsISD_E11result_typeE.num_named_barrier, 0
	.set _ZN12_GLOBAL__N_141elementwise_kernel_with_index_grid_strideIiZZZN2at6native17logspace_cuda_outERKN3c106ScalarES6_ldRNS1_6TensorEENKUlvE_clEvENKUlvE3_clEvEUllE_EEvT_T0_PN15function_traitsISD_E11result_typeE.private_seg_size, 0
	.set _ZN12_GLOBAL__N_141elementwise_kernel_with_index_grid_strideIiZZZN2at6native17logspace_cuda_outERKN3c106ScalarES6_ldRNS1_6TensorEENKUlvE_clEvENKUlvE3_clEvEUllE_EEvT_T0_PN15function_traitsISD_E11result_typeE.uses_vcc, 1
	.set _ZN12_GLOBAL__N_141elementwise_kernel_with_index_grid_strideIiZZZN2at6native17logspace_cuda_outERKN3c106ScalarES6_ldRNS1_6TensorEENKUlvE_clEvENKUlvE3_clEvEUllE_EEvT_T0_PN15function_traitsISD_E11result_typeE.uses_flat_scratch, 0
	.set _ZN12_GLOBAL__N_141elementwise_kernel_with_index_grid_strideIiZZZN2at6native17logspace_cuda_outERKN3c106ScalarES6_ldRNS1_6TensorEENKUlvE_clEvENKUlvE3_clEvEUllE_EEvT_T0_PN15function_traitsISD_E11result_typeE.has_dyn_sized_stack, 0
	.set _ZN12_GLOBAL__N_141elementwise_kernel_with_index_grid_strideIiZZZN2at6native17logspace_cuda_outERKN3c106ScalarES6_ldRNS1_6TensorEENKUlvE_clEvENKUlvE3_clEvEUllE_EEvT_T0_PN15function_traitsISD_E11result_typeE.has_recursion, 0
	.set _ZN12_GLOBAL__N_141elementwise_kernel_with_index_grid_strideIiZZZN2at6native17logspace_cuda_outERKN3c106ScalarES6_ldRNS1_6TensorEENKUlvE_clEvENKUlvE3_clEvEUllE_EEvT_T0_PN15function_traitsISD_E11result_typeE.has_indirect_call, 0
	.section	.AMDGPU.csdata,"",@progbits
; Kernel info:
; codeLenInByte = 1292
; TotalNumSgprs: 30
; NumVgprs: 23
; ScratchSize: 0
; MemoryBound: 0
; FloatMode: 240
; IeeeMode: 1
; LDSByteSize: 0 bytes/workgroup (compile time only)
; SGPRBlocks: 3
; VGPRBlocks: 5
; NumSGPRsForWavesPerEU: 30
; NumVGPRsForWavesPerEU: 23
; Occupancy: 10
; WaveLimiterHint : 0
; COMPUTE_PGM_RSRC2:SCRATCH_EN: 0
; COMPUTE_PGM_RSRC2:USER_SGPR: 6
; COMPUTE_PGM_RSRC2:TRAP_HANDLER: 0
; COMPUTE_PGM_RSRC2:TGID_X_EN: 1
; COMPUTE_PGM_RSRC2:TGID_Y_EN: 0
; COMPUTE_PGM_RSRC2:TGID_Z_EN: 0
; COMPUTE_PGM_RSRC2:TIDIG_COMP_CNT: 0
	.section	.text._ZN12_GLOBAL__N_141elementwise_kernel_with_index_grid_strideIlZZZN2at6native17logspace_cuda_outERKN3c106ScalarES6_ldRNS1_6TensorEENKUlvE_clEvENKUlvE3_clEvEUllE_EEvT_T0_PN15function_traitsISD_E11result_typeE,"axG",@progbits,_ZN12_GLOBAL__N_141elementwise_kernel_with_index_grid_strideIlZZZN2at6native17logspace_cuda_outERKN3c106ScalarES6_ldRNS1_6TensorEENKUlvE_clEvENKUlvE3_clEvEUllE_EEvT_T0_PN15function_traitsISD_E11result_typeE,comdat
	.globl	_ZN12_GLOBAL__N_141elementwise_kernel_with_index_grid_strideIlZZZN2at6native17logspace_cuda_outERKN3c106ScalarES6_ldRNS1_6TensorEENKUlvE_clEvENKUlvE3_clEvEUllE_EEvT_T0_PN15function_traitsISD_E11result_typeE ; -- Begin function _ZN12_GLOBAL__N_141elementwise_kernel_with_index_grid_strideIlZZZN2at6native17logspace_cuda_outERKN3c106ScalarES6_ldRNS1_6TensorEENKUlvE_clEvENKUlvE3_clEvEUllE_EEvT_T0_PN15function_traitsISD_E11result_typeE
	.p2align	8
	.type	_ZN12_GLOBAL__N_141elementwise_kernel_with_index_grid_strideIlZZZN2at6native17logspace_cuda_outERKN3c106ScalarES6_ldRNS1_6TensorEENKUlvE_clEvENKUlvE3_clEvEUllE_EEvT_T0_PN15function_traitsISD_E11result_typeE,@function
_ZN12_GLOBAL__N_141elementwise_kernel_with_index_grid_strideIlZZZN2at6native17logspace_cuda_outERKN3c106ScalarES6_ldRNS1_6TensorEENKUlvE_clEvENKUlvE3_clEvEUllE_EEvT_T0_PN15function_traitsISD_E11result_typeE: ; @_ZN12_GLOBAL__N_141elementwise_kernel_with_index_grid_strideIlZZZN2at6native17logspace_cuda_outERKN3c106ScalarES6_ldRNS1_6TensorEENKUlvE_clEvENKUlvE3_clEvEUllE_EEvT_T0_PN15function_traitsISD_E11result_typeE
; %bb.0:
	s_load_dword s2, s[4:5], 0x3c
	s_load_dwordx2 s[12:13], s[4:5], 0x0
	s_add_u32 s0, s4, 48
	s_addc_u32 s1, s5, 0
	v_mov_b32_e32 v1, 0
	s_waitcnt lgkmcnt(0)
	s_and_b32 s2, s2, 0xffff
	v_mov_b32_e32 v2, s6
	v_mad_u64_u32 v[0:1], s[6:7], s2, v2, v[0:1]
	v_cmp_gt_i64_e32 vcc, s[12:13], v[0:1]
	s_and_saveexec_b64 s[6:7], vcc
	s_cbranch_execz .LBB31_7
; %bb.1:
	s_load_dword s3, s[0:1], 0x0
	s_load_dwordx4 s[20:23], s[4:5], 0x8
	s_load_dword s18, s[4:5], 0x18
	s_load_dwordx4 s[8:11], s[4:5], 0x20
	v_not_b32_e32 v2, v0
	v_not_b32_e32 v3, v1
	s_waitcnt lgkmcnt(0)
	s_ashr_i32 s0, s20, 16
	v_cvt_f32_i32_e32 v6, s0
	s_sext_i32_i16 s0, s20
	v_mov_b32_e32 v4, s23
	v_add_co_u32_e32 v2, vcc, s22, v2
	v_cvt_f32_i32_e32 v7, s0
	v_addc_co_u32_e32 v3, vcc, v3, v4, vcc
	v_lshlrev_b64 v[4:5], 1, v[0:1]
	s_mul_hi_u32 s7, s2, s3
	s_mul_i32 s6, s2, s3
	v_mov_b32_e32 v8, s11
	v_add_co_u32_e32 v4, vcc, s10, v4
	v_cmp_eq_f32_e64 s[14:15], s21, 1.0
	v_addc_co_u32_e32 v5, vcc, v8, v5, vcc
	s_lshl_b64 s[10:11], s[6:7], 1
	s_mov_b64 s[16:17], 0
	v_mov_b32_e32 v8, s21
	s_mov_b32 s19, 0x3f2aaaab
	v_mov_b32_e32 v9, 0x3ecccdef
	s_mov_b32 s20, 0x3f317218
	s_movk_i32 s21, 0x204
	s_mov_b32 s22, 0x7f800000
	s_mov_b32 s23, 0x42b17218
	;; [unrolled: 1-line block ×4, first 2 shown]
	s_brev_b32 s26, -2
	v_mov_b32_e32 v10, 0x37000000
	v_mov_b32_e32 v11, 0x7f800000
	;; [unrolled: 1-line block ×3, first 2 shown]
	s_branch .LBB31_3
.LBB31_2:                               ;   in Loop: Header=BB31_3 Depth=1
	s_or_b64 exec, exec, s[0:1]
	v_cndmask_b32_e64 v15, v13, 1.0, s[14:15]
	v_cmp_neq_f32_e32 vcc, 0, v15
	v_cndmask_b32_e32 v16, 1.0, v8, vcc
	v_frexp_mant_f32_e64 v13, |v16|
	v_cmp_gt_f32_e32 vcc, s19, v13
	v_cndmask_b32_e64 v14, 1.0, 2.0, vcc
	v_mul_f32_e32 v13, v13, v14
	v_add_f32_e32 v17, 1.0, v13
	v_add_f32_e32 v18, -1.0, v17
	v_add_f32_e32 v14, -1.0, v13
	v_sub_f32_e32 v13, v13, v18
	v_rcp_f32_e32 v18, v17
	v_cmp_gt_f32_e64 s[2:3], 0, v16
	v_cmp_lt_f32_e64 s[4:5], |v16|, 1.0
	v_mul_f32_e32 v19, v14, v18
	v_mul_f32_e32 v20, v17, v19
	v_fma_f32 v17, v19, v17, -v20
	v_fmac_f32_e32 v17, v19, v13
	v_add_f32_e32 v13, v20, v17
	v_sub_f32_e32 v21, v14, v13
	v_sub_f32_e32 v20, v13, v20
	;; [unrolled: 1-line block ×5, first 2 shown]
	v_add_f32_e32 v13, v14, v13
	v_add_f32_e32 v13, v21, v13
	v_mul_f32_e32 v13, v18, v13
	v_add_f32_e32 v17, v19, v13
	v_sub_f32_e32 v14, v17, v19
	v_sub_f32_e32 v18, v13, v14
	v_mul_f32_e32 v13, v17, v17
	v_fma_f32 v14, v17, v17, -v13
	v_add_f32_e32 v19, v18, v18
	v_fmac_f32_e32 v14, v17, v19
	v_add_f32_e32 v19, v13, v14
	v_sub_f32_e32 v13, v19, v13
	v_sub_f32_e32 v13, v14, v13
	v_mul_f32_e32 v14, v17, v19
	v_fma_f32 v21, v19, v17, -v14
	v_fmac_f32_e32 v21, v19, v18
	v_mov_b32_e32 v20, 0x3e91f4c4
	v_fmac_f32_e32 v21, v13, v17
	v_fmac_f32_e32 v20, 0x3e76c4e1, v19
	v_add_f32_e32 v22, v14, v21
	v_fma_f32 v20, v19, v20, v9
	v_sub_f32_e32 v14, v22, v14
	v_sub_f32_e32 v14, v21, v14
	v_mul_f32_e32 v21, v19, v20
	v_fma_f32 v19, v19, v20, -v21
	v_fmac_f32_e32 v19, v13, v20
	v_add_f32_e32 v13, v21, v19
	v_add_f32_e32 v20, 0x3f2aaaaa, v13
	v_sub_f32_e32 v21, v13, v21
	v_sub_f32_e32 v19, v19, v21
	v_add_f32_e32 v21, 0xbf2aaaaa, v20
	v_add_f32_e32 v19, 0x31739010, v19
	v_sub_f32_e32 v13, v13, v21
	v_add_f32_e32 v13, v19, v13
	v_add_f32_e32 v19, v20, v13
	v_sub_f32_e32 v20, v20, v19
	v_add_f32_e32 v13, v13, v20
	v_mul_f32_e32 v20, v22, v19
	v_fma_f32 v21, v22, v19, -v20
	v_fmac_f32_e32 v21, v22, v13
	v_fmac_f32_e32 v21, v14, v19
	v_cvt_f64_f32_e64 v[13:14], |v16|
	v_ldexp_f32 v17, v17, 1
	v_frexp_exp_i32_f64_e32 v13, v[13:14]
	v_subbrev_co_u32_e32 v13, vcc, 0, v13, vcc
	v_cvt_f32_i32_e32 v13, v13
	v_mul_f32_e32 v14, 0x3f317218, v13
	v_fma_f32 v19, v13, s20, -v14
	v_fmac_f32_e32 v19, 0xb102e308, v13
	v_ldexp_f32 v13, v18, 1
	v_add_f32_e32 v18, v14, v19
	v_sub_f32_e32 v14, v18, v14
	v_sub_f32_e32 v14, v19, v14
	v_add_f32_e32 v19, v20, v21
	v_sub_f32_e32 v20, v19, v20
	v_sub_f32_e32 v20, v21, v20
	;; [unrolled: 3-line block ×3, first 2 shown]
	v_add_f32_e32 v13, v13, v20
	v_add_f32_e32 v13, v13, v17
	;; [unrolled: 1-line block ×3, first 2 shown]
	v_sub_f32_e32 v19, v17, v21
	v_sub_f32_e32 v13, v13, v19
	v_add_f32_e32 v19, v18, v17
	v_sub_f32_e32 v20, v19, v18
	v_sub_f32_e32 v21, v19, v20
	;; [unrolled: 1-line block ×4, first 2 shown]
	v_add_f32_e32 v17, v17, v18
	v_add_f32_e32 v18, v14, v13
	v_sub_f32_e32 v20, v18, v14
	v_sub_f32_e32 v21, v18, v20
	v_sub_f32_e32 v14, v14, v21
	v_sub_f32_e32 v13, v13, v20
	v_add_f32_e32 v13, v13, v14
	v_add_f32_e32 v14, v18, v17
	;; [unrolled: 1-line block ×3, first 2 shown]
	v_sub_f32_e32 v18, v17, v19
	v_sub_f32_e32 v14, v14, v18
	v_add_f32_e32 v13, v13, v14
	v_add_f32_e32 v14, v17, v13
	v_sub_f32_e32 v17, v14, v17
	v_sub_f32_e32 v13, v13, v17
	v_mul_f32_e32 v17, v15, v14
	v_fma_f32 v14, v15, v14, -v17
	v_fmac_f32_e32 v14, v15, v13
	v_add_f32_e32 v13, v17, v14
	v_cmp_class_f32_e64 vcc, v17, s21
	v_sub_f32_e32 v18, v13, v17
	v_cndmask_b32_e32 v13, v13, v17, vcc
	v_sub_f32_e32 v14, v14, v18
	v_cmp_neq_f32_e64 vcc, |v13|, s22
	v_cndmask_b32_e32 v14, 0, v14, vcc
	v_cmp_eq_f32_e32 vcc, s23, v13
	v_cndmask_b32_e32 v17, 0, v10, vcc
	v_sub_f32_e32 v13, v13, v17
	v_add_f32_e32 v14, v17, v14
	v_mul_f32_e32 v17, 0x3fb8aa3b, v13
	v_fma_f32 v18, v13, s24, -v17
	v_rndne_f32_e32 v19, v17
	v_fmac_f32_e32 v18, 0x32a5705f, v13
	v_sub_f32_e32 v17, v17, v19
	v_add_f32_e32 v17, v17, v18
	v_exp_f32_e32 v17, v17
	v_cvt_i32_f32_e32 v18, v19
	v_cmp_ngt_f32_e32 vcc, s25, v13
	v_ldexp_f32 v17, v17, v18
	v_cndmask_b32_e32 v17, 0, v17, vcc
	v_cmp_nlt_f32_e32 vcc, s23, v13
	v_cndmask_b32_e32 v13, v11, v17, vcc
	v_fma_f32 v14, v13, v14, v13
	v_cmp_class_f32_e64 vcc, v13, s21
	v_cndmask_b32_e32 v13, v14, v13, vcc
	v_trunc_f32_e32 v14, v15
	v_cmp_eq_f32_e32 vcc, v14, v15
	v_mul_f32_e32 v14, 0.5, v15
	v_trunc_f32_e32 v17, v14
	v_cmp_neq_f32_e64 s[0:1], v17, v14
	s_and_b64 s[0:1], vcc, s[0:1]
	v_cndmask_b32_e64 v14, 1.0, v16, s[0:1]
	v_bfi_b32 v13, s26, v13, v14
	v_cndmask_b32_e32 v14, v12, v13, vcc
	v_cndmask_b32_e64 v13, v13, v14, s[2:3]
	v_cmp_neq_f32_e64 s[2:3], v15, |v15|
	s_xor_b64 s[2:3], s[2:3], s[4:5]
	v_cndmask_b32_e64 v14, v11, 0, s[2:3]
	v_cmp_neq_f32_e64 s[2:3], |v16|, 1.0
	v_cmp_class_f32_e64 vcc, v15, s21
	v_cndmask_b32_e64 v14, 1.0, v14, s[2:3]
	v_cndmask_b32_e32 v13, v13, v14, vcc
	v_cmp_eq_f32_e32 vcc, 0, v16
	v_cmp_gt_f32_e64 s[4:5], 0, v15
	s_xor_b64 s[4:5], s[4:5], vcc
	v_cmp_class_f32_e64 s[2:3], v16, s21
	v_cndmask_b32_e64 v14, v11, 0, s[4:5]
	v_cndmask_b32_e64 v17, 0, v16, s[0:1]
	s_or_b64 s[2:3], vcc, s[2:3]
	v_bfi_b32 v14, s26, v14, v17
	v_cndmask_b32_e64 v13, v13, v14, s[2:3]
	v_cmp_o_f32_e32 vcc, v16, v15
	v_cndmask_b32_e32 v13, v12, v13, vcc
	v_cvt_i32_f32_e32 v13, v13
	v_add_co_u32_e32 v0, vcc, s6, v0
	global_store_short v[4:5], v13, off
	v_mov_b32_e32 v13, s7
	v_addc_co_u32_e32 v1, vcc, v1, v13, vcc
	v_subrev_co_u32_e32 v2, vcc, s6, v2
	v_subb_co_u32_e32 v3, vcc, v3, v13, vcc
	v_add_co_u32_e32 v4, vcc, s10, v4
	v_mov_b32_e32 v13, s11
	v_addc_co_u32_e32 v5, vcc, v5, v13, vcc
	v_cmp_le_i64_e32 vcc, s[12:13], v[0:1]
	s_or_b64 s[16:17], vcc, s[16:17]
	s_andn2_b64 exec, exec, s[16:17]
	s_cbranch_execz .LBB31_7
.LBB31_3:                               ; =>This Inner Loop Header: Depth=1
	v_cmp_le_i64_e32 vcc, s[8:9], v[0:1]
                                        ; implicit-def: $vgpr13
	s_and_saveexec_b64 s[0:1], vcc
	s_xor_b64 s[0:1], exec, s[0:1]
	s_cbranch_execz .LBB31_5
; %bb.4:                                ;   in Loop: Header=BB31_3 Depth=1
	v_xor_b32_e32 v14, v2, v3
	v_ffbh_i32_e32 v13, v3
	v_ashrrev_i32_e32 v14, 31, v14
	v_add_u32_e32 v13, -1, v13
	v_add_u32_e32 v14, 32, v14
	v_min_u32_e32 v15, v13, v14
	v_lshlrev_b64 v[13:14], v15, v[2:3]
	v_min_u32_e32 v13, 1, v13
	v_or_b32_e32 v13, v14, v13
	v_cvt_f32_i32_e32 v13, v13
	v_sub_u32_e32 v14, 32, v15
	v_ldexp_f32 v13, v13, v14
	v_fma_f32 v13, -s18, v13, v6
.LBB31_5:                               ;   in Loop: Header=BB31_3 Depth=1
	s_andn2_saveexec_b64 s[0:1], s[0:1]
	s_cbranch_execz .LBB31_2
; %bb.6:                                ;   in Loop: Header=BB31_3 Depth=1
	v_ffbh_u32_e32 v13, v1
	v_min_u32_e32 v15, 32, v13
	v_lshlrev_b64 v[13:14], v15, v[0:1]
	v_min_u32_e32 v13, 1, v13
	v_or_b32_e32 v13, v14, v13
	v_cvt_f32_u32_e32 v13, v13
	v_sub_u32_e32 v14, 32, v15
	v_ldexp_f32 v13, v13, v14
	v_fma_f32 v13, s18, v13, v7
	s_branch .LBB31_2
.LBB31_7:
	s_endpgm
	.section	.rodata,"a",@progbits
	.p2align	6, 0x0
	.amdhsa_kernel _ZN12_GLOBAL__N_141elementwise_kernel_with_index_grid_strideIlZZZN2at6native17logspace_cuda_outERKN3c106ScalarES6_ldRNS1_6TensorEENKUlvE_clEvENKUlvE3_clEvEUllE_EEvT_T0_PN15function_traitsISD_E11result_typeE
		.amdhsa_group_segment_fixed_size 0
		.amdhsa_private_segment_fixed_size 0
		.amdhsa_kernarg_size 304
		.amdhsa_user_sgpr_count 6
		.amdhsa_user_sgpr_private_segment_buffer 1
		.amdhsa_user_sgpr_dispatch_ptr 0
		.amdhsa_user_sgpr_queue_ptr 0
		.amdhsa_user_sgpr_kernarg_segment_ptr 1
		.amdhsa_user_sgpr_dispatch_id 0
		.amdhsa_user_sgpr_flat_scratch_init 0
		.amdhsa_user_sgpr_private_segment_size 0
		.amdhsa_uses_dynamic_stack 0
		.amdhsa_system_sgpr_private_segment_wavefront_offset 0
		.amdhsa_system_sgpr_workgroup_id_x 1
		.amdhsa_system_sgpr_workgroup_id_y 0
		.amdhsa_system_sgpr_workgroup_id_z 0
		.amdhsa_system_sgpr_workgroup_info 0
		.amdhsa_system_vgpr_workitem_id 0
		.amdhsa_next_free_vgpr 23
		.amdhsa_next_free_sgpr 27
		.amdhsa_reserve_vcc 1
		.amdhsa_reserve_flat_scratch 0
		.amdhsa_float_round_mode_32 0
		.amdhsa_float_round_mode_16_64 0
		.amdhsa_float_denorm_mode_32 3
		.amdhsa_float_denorm_mode_16_64 3
		.amdhsa_dx10_clamp 1
		.amdhsa_ieee_mode 1
		.amdhsa_fp16_overflow 0
		.amdhsa_exception_fp_ieee_invalid_op 0
		.amdhsa_exception_fp_denorm_src 0
		.amdhsa_exception_fp_ieee_div_zero 0
		.amdhsa_exception_fp_ieee_overflow 0
		.amdhsa_exception_fp_ieee_underflow 0
		.amdhsa_exception_fp_ieee_inexact 0
		.amdhsa_exception_int_div_zero 0
	.end_amdhsa_kernel
	.section	.text._ZN12_GLOBAL__N_141elementwise_kernel_with_index_grid_strideIlZZZN2at6native17logspace_cuda_outERKN3c106ScalarES6_ldRNS1_6TensorEENKUlvE_clEvENKUlvE3_clEvEUllE_EEvT_T0_PN15function_traitsISD_E11result_typeE,"axG",@progbits,_ZN12_GLOBAL__N_141elementwise_kernel_with_index_grid_strideIlZZZN2at6native17logspace_cuda_outERKN3c106ScalarES6_ldRNS1_6TensorEENKUlvE_clEvENKUlvE3_clEvEUllE_EEvT_T0_PN15function_traitsISD_E11result_typeE,comdat
.Lfunc_end31:
	.size	_ZN12_GLOBAL__N_141elementwise_kernel_with_index_grid_strideIlZZZN2at6native17logspace_cuda_outERKN3c106ScalarES6_ldRNS1_6TensorEENKUlvE_clEvENKUlvE3_clEvEUllE_EEvT_T0_PN15function_traitsISD_E11result_typeE, .Lfunc_end31-_ZN12_GLOBAL__N_141elementwise_kernel_with_index_grid_strideIlZZZN2at6native17logspace_cuda_outERKN3c106ScalarES6_ldRNS1_6TensorEENKUlvE_clEvENKUlvE3_clEvEUllE_EEvT_T0_PN15function_traitsISD_E11result_typeE
                                        ; -- End function
	.set _ZN12_GLOBAL__N_141elementwise_kernel_with_index_grid_strideIlZZZN2at6native17logspace_cuda_outERKN3c106ScalarES6_ldRNS1_6TensorEENKUlvE_clEvENKUlvE3_clEvEUllE_EEvT_T0_PN15function_traitsISD_E11result_typeE.num_vgpr, 23
	.set _ZN12_GLOBAL__N_141elementwise_kernel_with_index_grid_strideIlZZZN2at6native17logspace_cuda_outERKN3c106ScalarES6_ldRNS1_6TensorEENKUlvE_clEvENKUlvE3_clEvEUllE_EEvT_T0_PN15function_traitsISD_E11result_typeE.num_agpr, 0
	.set _ZN12_GLOBAL__N_141elementwise_kernel_with_index_grid_strideIlZZZN2at6native17logspace_cuda_outERKN3c106ScalarES6_ldRNS1_6TensorEENKUlvE_clEvENKUlvE3_clEvEUllE_EEvT_T0_PN15function_traitsISD_E11result_typeE.numbered_sgpr, 27
	.set _ZN12_GLOBAL__N_141elementwise_kernel_with_index_grid_strideIlZZZN2at6native17logspace_cuda_outERKN3c106ScalarES6_ldRNS1_6TensorEENKUlvE_clEvENKUlvE3_clEvEUllE_EEvT_T0_PN15function_traitsISD_E11result_typeE.num_named_barrier, 0
	.set _ZN12_GLOBAL__N_141elementwise_kernel_with_index_grid_strideIlZZZN2at6native17logspace_cuda_outERKN3c106ScalarES6_ldRNS1_6TensorEENKUlvE_clEvENKUlvE3_clEvEUllE_EEvT_T0_PN15function_traitsISD_E11result_typeE.private_seg_size, 0
	.set _ZN12_GLOBAL__N_141elementwise_kernel_with_index_grid_strideIlZZZN2at6native17logspace_cuda_outERKN3c106ScalarES6_ldRNS1_6TensorEENKUlvE_clEvENKUlvE3_clEvEUllE_EEvT_T0_PN15function_traitsISD_E11result_typeE.uses_vcc, 1
	.set _ZN12_GLOBAL__N_141elementwise_kernel_with_index_grid_strideIlZZZN2at6native17logspace_cuda_outERKN3c106ScalarES6_ldRNS1_6TensorEENKUlvE_clEvENKUlvE3_clEvEUllE_EEvT_T0_PN15function_traitsISD_E11result_typeE.uses_flat_scratch, 0
	.set _ZN12_GLOBAL__N_141elementwise_kernel_with_index_grid_strideIlZZZN2at6native17logspace_cuda_outERKN3c106ScalarES6_ldRNS1_6TensorEENKUlvE_clEvENKUlvE3_clEvEUllE_EEvT_T0_PN15function_traitsISD_E11result_typeE.has_dyn_sized_stack, 0
	.set _ZN12_GLOBAL__N_141elementwise_kernel_with_index_grid_strideIlZZZN2at6native17logspace_cuda_outERKN3c106ScalarES6_ldRNS1_6TensorEENKUlvE_clEvENKUlvE3_clEvEUllE_EEvT_T0_PN15function_traitsISD_E11result_typeE.has_recursion, 0
	.set _ZN12_GLOBAL__N_141elementwise_kernel_with_index_grid_strideIlZZZN2at6native17logspace_cuda_outERKN3c106ScalarES6_ldRNS1_6TensorEENKUlvE_clEvENKUlvE3_clEvEUllE_EEvT_T0_PN15function_traitsISD_E11result_typeE.has_indirect_call, 0
	.section	.AMDGPU.csdata,"",@progbits
; Kernel info:
; codeLenInByte = 1332
; TotalNumSgprs: 31
; NumVgprs: 23
; ScratchSize: 0
; MemoryBound: 0
; FloatMode: 240
; IeeeMode: 1
; LDSByteSize: 0 bytes/workgroup (compile time only)
; SGPRBlocks: 3
; VGPRBlocks: 5
; NumSGPRsForWavesPerEU: 31
; NumVGPRsForWavesPerEU: 23
; Occupancy: 10
; WaveLimiterHint : 0
; COMPUTE_PGM_RSRC2:SCRATCH_EN: 0
; COMPUTE_PGM_RSRC2:USER_SGPR: 6
; COMPUTE_PGM_RSRC2:TRAP_HANDLER: 0
; COMPUTE_PGM_RSRC2:TGID_X_EN: 1
; COMPUTE_PGM_RSRC2:TGID_Y_EN: 0
; COMPUTE_PGM_RSRC2:TGID_Z_EN: 0
; COMPUTE_PGM_RSRC2:TIDIG_COMP_CNT: 0
	.section	.text._ZN12_GLOBAL__N_141elementwise_kernel_with_index_grid_strideIiZZZN2at6native17logspace_cuda_outERKN3c106ScalarES6_ldRNS1_6TensorEENKUlvE0_clEvENKUlvE_clEvEUllE_EEvT_T0_PN15function_traitsISD_E11result_typeE,"axG",@progbits,_ZN12_GLOBAL__N_141elementwise_kernel_with_index_grid_strideIiZZZN2at6native17logspace_cuda_outERKN3c106ScalarES6_ldRNS1_6TensorEENKUlvE0_clEvENKUlvE_clEvEUllE_EEvT_T0_PN15function_traitsISD_E11result_typeE,comdat
	.globl	_ZN12_GLOBAL__N_141elementwise_kernel_with_index_grid_strideIiZZZN2at6native17logspace_cuda_outERKN3c106ScalarES6_ldRNS1_6TensorEENKUlvE0_clEvENKUlvE_clEvEUllE_EEvT_T0_PN15function_traitsISD_E11result_typeE ; -- Begin function _ZN12_GLOBAL__N_141elementwise_kernel_with_index_grid_strideIiZZZN2at6native17logspace_cuda_outERKN3c106ScalarES6_ldRNS1_6TensorEENKUlvE0_clEvENKUlvE_clEvEUllE_EEvT_T0_PN15function_traitsISD_E11result_typeE
	.p2align	8
	.type	_ZN12_GLOBAL__N_141elementwise_kernel_with_index_grid_strideIiZZZN2at6native17logspace_cuda_outERKN3c106ScalarES6_ldRNS1_6TensorEENKUlvE0_clEvENKUlvE_clEvEUllE_EEvT_T0_PN15function_traitsISD_E11result_typeE,@function
_ZN12_GLOBAL__N_141elementwise_kernel_with_index_grid_strideIiZZZN2at6native17logspace_cuda_outERKN3c106ScalarES6_ldRNS1_6TensorEENKUlvE0_clEvENKUlvE_clEvEUllE_EEvT_T0_PN15function_traitsISD_E11result_typeE: ; @_ZN12_GLOBAL__N_141elementwise_kernel_with_index_grid_strideIiZZZN2at6native17logspace_cuda_outERKN3c106ScalarES6_ldRNS1_6TensorEENKUlvE0_clEvENKUlvE_clEvEUllE_EEvT_T0_PN15function_traitsISD_E11result_typeE
; %bb.0:
	s_load_dword s2, s[4:5], 0x4c
	s_load_dword s33, s[4:5], 0x0
	s_add_u32 s0, s4, 64
	s_addc_u32 s1, s5, 0
	s_waitcnt lgkmcnt(0)
	s_and_b32 s2, s2, 0xffff
	s_mul_i32 s6, s6, s2
	v_add_u32_e32 v0, s6, v0
	v_cmp_gt_i32_e32 vcc, s33, v0
	s_and_saveexec_b64 s[6:7], vcc
	s_cbranch_execz .LBB32_7
; %bb.1:
	s_load_dword s3, s[0:1], 0x0
	s_load_dwordx8 s[16:23], s[4:5], 0x8
	s_load_dwordx2 s[6:7], s[4:5], 0x38
	v_ashrrev_i32_e32 v1, 31, v0
	v_not_b32_e32 v3, v0
	v_not_b32_e32 v2, v1
	s_waitcnt lgkmcnt(0)
	v_mov_b32_e32 v4, s23
	v_add_co_u32_e32 v10, vcc, s22, v3
	v_addc_co_u32_e32 v11, vcc, v2, v4, vcc
	v_lshlrev_b64 v[2:3], 3, v[0:1]
	v_mov_b32_e32 v4, s7
	v_add_co_u32_e32 v2, vcc, s6, v2
	v_addc_co_u32_e32 v3, vcc, v4, v3, vcc
	v_cmp_eq_f64_e64 vcc, s[20:21], 1.0
	s_load_dwordx4 s[24:27], s[4:5], 0x28
	s_mul_i32 s14, s3, s2
	s_ashr_i32 s15, s14, 31
	s_mov_b32 s22, 0x55555555
	s_mov_b32 s28, 0x55555555
	;; [unrolled: 1-line block ×26, first 2 shown]
	v_mov_b32_e32 v12, 0x3ff00000
	s_mov_b32 s23, 0x3fe55555
	s_mov_b32 s29, 0xbfe55555
	s_mov_b32 s31, 0x3fbdee67
	s_mov_b32 s35, 0x3fbe25e4
	s_mov_b32 s37, 0x3fc110ef
	s_mov_b32 s39, 0x3fc3b13b
	s_mov_b32 s41, 0x3fc745d1
	s_mov_b32 s43, 0x3fcc71c7
	s_mov_b32 s45, 0x3fd24924
	s_mov_b32 s47, 0x3fd99999
	s_mov_b32 s49, 0x3fe62e42
	s_mov_b32 s51, 0x3c7abc9e
	s_mov_b32 s53, 0x3c8543b0
	s_movk_i32 s86, 0x204
	s_mov_b32 s55, 0x3ff71547
	s_mov_b32 s57, 0x3e5ade15
	;; [unrolled: 1-line block ×10, first 2 shown]
	s_brev_b32 s87, -2
	v_mov_b32_e32 v13, s21
	v_mov_b32_e32 v14, s20
	;; [unrolled: 1-line block ×8, first 2 shown]
	s_lshl_b64 s[20:21], s[14:15], 3
	s_mov_b64 s[74:75], 0
	s_mov_b32 s77, 0x7ff00000
	s_mov_b32 s79, 0xbfe62e42
	;; [unrolled: 1-line block ×5, first 2 shown]
	s_branch .LBB32_3
.LBB32_2:                               ;   in Loop: Header=BB32_3 Depth=1
	s_or_b64 exec, exec, s[0:1]
	v_cndmask_b32_e32 v9, v9, v12, vcc
	v_cndmask_b32_e64 v8, v8, 0, vcc
	v_cmp_neq_f64_e64 s[0:1], 0, v[8:9]
	s_mov_b32 s78, s48
	s_mov_b32 s84, s50
	v_cmp_neq_f64_e64 s[10:11], v[8:9], |v[8:9]|
	v_add_co_u32_e64 v0, s[6:7], s14, v0
	v_cndmask_b32_e64 v18, v12, v13, s[0:1]
	v_cndmask_b32_e64 v17, 0, v14, s[0:1]
	v_frexp_mant_f64_e64 v[19:20], |v[17:18]|
	v_cmp_lt_f64_e64 s[12:13], |v[17:18]|, 1.0
	v_cmp_class_f64_e64 s[88:89], v[17:18], s86
	v_cmp_gt_f64_e64 s[0:1], s[22:23], v[19:20]
	s_xor_b64 s[10:11], s[10:11], s[12:13]
	v_cmp_neq_f64_e64 s[12:13], |v[17:18]|, 1.0
	v_cndmask_b32_e64 v21, 0, 1, s[0:1]
	v_ldexp_f64 v[19:20], v[19:20], v21
	v_add_f64 v[21:22], v[19:20], 1.0
	v_add_f64 v[27:28], v[19:20], -1.0
	v_rcp_f64_e32 v[23:24], v[21:22]
	v_add_f64 v[29:30], v[21:22], -1.0
	v_add_f64 v[19:20], v[19:20], -v[29:30]
	v_fma_f64 v[25:26], -v[21:22], v[23:24], 1.0
	v_fma_f64 v[23:24], v[25:26], v[23:24], v[23:24]
	v_fma_f64 v[25:26], -v[21:22], v[23:24], 1.0
	v_fma_f64 v[23:24], v[25:26], v[23:24], v[23:24]
	v_mul_f64 v[25:26], v[27:28], v[23:24]
	v_mul_f64 v[31:32], v[21:22], v[25:26]
	v_fma_f64 v[21:22], v[25:26], v[21:22], -v[31:32]
	v_fma_f64 v[19:20], v[25:26], v[19:20], v[21:22]
	v_add_f64 v[21:22], v[31:32], v[19:20]
	v_add_f64 v[29:30], v[27:28], -v[21:22]
	v_add_f64 v[31:32], v[21:22], -v[31:32]
	;; [unrolled: 1-line block ×5, first 2 shown]
	v_add_f64 v[19:20], v[19:20], v[21:22]
	v_add_f64 v[19:20], v[29:30], v[19:20]
	v_mul_f64 v[19:20], v[23:24], v[19:20]
	v_add_f64 v[21:22], v[25:26], v[19:20]
	v_add_f64 v[23:24], v[21:22], -v[25:26]
	v_mul_f64 v[25:26], v[21:22], v[21:22]
	v_add_f64 v[19:20], v[19:20], -v[23:24]
	v_fma_f64 v[23:24], v[21:22], v[21:22], -v[25:26]
	v_add_f64 v[27:28], v[19:20], v[19:20]
	v_fma_f64 v[23:24], v[21:22], v[27:28], v[23:24]
	v_add_f64 v[27:28], v[25:26], v[23:24]
	v_fma_f64 v[29:30], v[27:28], s[30:31], v[4:5]
	v_add_f64 v[25:26], v[27:28], -v[25:26]
	v_mul_f64 v[33:34], v[21:22], v[27:28]
	v_fma_f64 v[29:30], v[27:28], v[29:30], s[34:35]
	v_add_f64 v[23:24], v[23:24], -v[25:26]
	v_fma_f64 v[29:30], v[27:28], v[29:30], s[36:37]
	v_fma_f64 v[29:30], v[27:28], v[29:30], s[38:39]
	;; [unrolled: 1-line block ×6, first 2 shown]
	v_mul_f64 v[31:32], v[27:28], v[29:30]
	v_fma_f64 v[25:26], v[27:28], v[29:30], -v[31:32]
	v_fma_f64 v[25:26], v[23:24], v[29:30], v[25:26]
	v_fma_f64 v[29:30], v[27:28], v[21:22], -v[33:34]
	v_fma_f64 v[27:28], v[27:28], v[19:20], v[29:30]
	v_add_f64 v[29:30], v[31:32], v[25:26]
	v_ldexp_f64 v[19:20], v[19:20], 1
	v_fma_f64 v[23:24], v[23:24], v[21:22], v[27:28]
	v_add_f64 v[27:28], v[29:30], -v[31:32]
	v_add_f64 v[31:32], v[29:30], s[22:23]
	v_ldexp_f64 v[21:22], v[21:22], 1
	v_add_f64 v[25:26], v[25:26], -v[27:28]
	v_add_f64 v[27:28], v[31:32], s[28:29]
	v_add_f64 v[25:26], v[25:26], s[52:53]
	v_add_f64 v[27:28], v[29:30], -v[27:28]
	v_add_f64 v[29:30], v[33:34], v[23:24]
	v_add_f64 v[25:26], v[25:26], v[27:28]
	v_add_f64 v[27:28], v[29:30], -v[33:34]
	v_add_f64 v[33:34], v[31:32], v[25:26]
	v_add_f64 v[23:24], v[23:24], -v[27:28]
	v_add_f64 v[27:28], v[31:32], -v[33:34]
	v_mul_f64 v[31:32], v[29:30], v[33:34]
	v_add_f64 v[25:26], v[25:26], v[27:28]
	v_fma_f64 v[27:28], v[29:30], v[33:34], -v[31:32]
	v_fma_f64 v[25:26], v[29:30], v[25:26], v[27:28]
	v_frexp_exp_i32_f64_e32 v27, v[17:18]
	v_fma_f64 v[23:24], v[23:24], v[33:34], v[25:26]
	v_subbrev_co_u32_e64 v33, s[0:1], 0, v27, s[0:1]
	v_add_f64 v[25:26], v[31:32], v[23:24]
	v_add_f64 v[27:28], v[21:22], v[25:26]
	v_add_f64 v[29:30], v[25:26], -v[31:32]
	v_cvt_f64_i32_e32 v[31:32], v33
	v_mul_f64 v[33:34], v[31:32], s[48:49]
	v_add_f64 v[21:22], v[27:28], -v[21:22]
	v_add_f64 v[23:24], v[23:24], -v[29:30]
	v_fma_f64 v[29:30], v[31:32], s[48:49], -v[33:34]
	v_add_f64 v[21:22], v[25:26], -v[21:22]
	v_add_f64 v[19:20], v[19:20], v[23:24]
	v_fma_f64 v[23:24], v[31:32], s[50:51], v[29:30]
	v_add_f64 v[19:20], v[19:20], v[21:22]
	v_add_f64 v[21:22], v[33:34], v[23:24]
	;; [unrolled: 1-line block ×3, first 2 shown]
	v_add_f64 v[31:32], v[21:22], -v[33:34]
	v_add_f64 v[29:30], v[21:22], v[25:26]
	v_add_f64 v[27:28], v[25:26], -v[27:28]
	v_add_f64 v[23:24], v[23:24], -v[31:32]
	;; [unrolled: 1-line block ×6, first 2 shown]
	v_add_f64 v[27:28], v[23:24], v[19:20]
	v_add_f64 v[21:22], v[21:22], -v[31:32]
	v_add_f64 v[21:22], v[25:26], v[21:22]
	v_add_f64 v[25:26], v[27:28], -v[23:24]
	;; [unrolled: 2-line block ×3, first 2 shown]
	v_add_f64 v[19:20], v[19:20], -v[25:26]
	v_add_f64 v[31:32], v[29:30], v[21:22]
	v_add_f64 v[23:24], v[23:24], -v[27:28]
	v_add_f64 v[25:26], v[31:32], -v[29:30]
	v_add_f64 v[19:20], v[19:20], v[23:24]
	v_add_f64 v[21:22], v[21:22], -v[25:26]
	v_add_f64 v[19:20], v[19:20], v[21:22]
	v_add_f64 v[21:22], v[31:32], v[19:20]
	v_add_f64 v[23:24], v[21:22], -v[31:32]
	v_mul_f64 v[25:26], v[8:9], v[21:22]
	v_add_f64 v[19:20], v[19:20], -v[23:24]
	v_fma_f64 v[21:22], v[8:9], v[21:22], -v[25:26]
	v_cmp_class_f64_e64 s[0:1], v[25:26], s86
	v_fma_f64 v[19:20], v[8:9], v[19:20], v[21:22]
	v_add_f64 v[21:22], v[25:26], v[19:20]
	v_cndmask_b32_e64 v24, v22, v26, s[0:1]
	v_cndmask_b32_e64 v23, v21, v25, s[0:1]
	v_mul_f64 v[27:28], v[23:24], s[54:55]
	v_add_f64 v[21:22], v[21:22], -v[25:26]
	v_cmp_neq_f64_e64 s[0:1], |v[23:24]|, s[76:77]
	v_cmp_nlt_f64_e64 s[2:3], s[80:81], v[23:24]
	v_cmp_ngt_f64_e64 s[4:5], s[82:83], v[23:24]
	v_rndne_f64_e32 v[27:28], v[27:28]
	v_add_f64 v[19:20], v[19:20], -v[21:22]
	v_fma_f64 v[29:30], v[27:28], s[78:79], v[23:24]
	v_cndmask_b32_e64 v20, 0, v20, s[0:1]
	v_cndmask_b32_e64 v19, 0, v19, s[0:1]
	s_and_b64 s[0:1], s[4:5], s[2:3]
	v_fma_f64 v[29:30], v[27:28], s[84:85], v[29:30]
	v_cvt_i32_f64_e32 v27, v[27:28]
	v_fma_f64 v[31:32], v[29:30], s[56:57], v[6:7]
	v_fma_f64 v[31:32], v[29:30], v[31:32], s[58:59]
	;; [unrolled: 1-line block ×9, first 2 shown]
	v_fma_f64 v[31:32], v[29:30], v[31:32], 1.0
	v_fma_f64 v[29:30], v[29:30], v[31:32], 1.0
	v_ldexp_f64 v[25:26], v[29:30], v27
	v_mul_f64 v[27:28], v[8:9], 0.5
	v_mov_b32_e32 v29, s15
	v_addc_co_u32_e64 v1, s[6:7], v1, v29, s[6:7]
	v_mov_b32_e32 v30, s21
	v_cndmask_b32_e64 v26, v15, v26, s[2:3]
	v_trunc_f64_e32 v[21:22], v[27:28]
	v_cndmask_b32_e64 v24, 0, v26, s[4:5]
	v_cndmask_b32_e64 v23, 0, v25, s[0:1]
	v_trunc_f64_e32 v[25:26], v[8:9]
	v_fma_f64 v[19:20], v[23:24], v[19:20], v[23:24]
	v_cmp_class_f64_e64 s[6:7], v[23:24], s86
	v_cmp_gt_f64_e64 s[0:1], 0, v[8:9]
	v_cmp_eq_f64_e64 s[2:3], 0, v[17:18]
	v_cmp_neq_f64_e64 s[4:5], v[21:22], v[27:28]
	v_cndmask_b32_e64 v21, v15, 0, s[10:11]
	v_cmp_gt_f64_e64 s[10:11], 0, v[17:18]
	v_cmp_eq_f64_e64 s[8:9], v[25:26], v[8:9]
	v_cndmask_b32_e64 v21, v12, v21, s[12:13]
	v_cndmask_b32_e64 v19, v19, v23, s[6:7]
	;; [unrolled: 1-line block ×3, first 2 shown]
	v_cmp_class_f64_e64 s[6:7], v[8:9], s86
	s_xor_b64 s[0:1], s[0:1], s[2:3]
	v_cndmask_b32_e64 v22, 0, v19, s[8:9]
	s_and_b64 s[4:5], s[8:9], s[4:5]
	v_cndmask_b32_e64 v19, v19, v22, s[10:11]
	v_cndmask_b32_e64 v22, v12, v18, s[4:5]
	v_bfi_b32 v20, s87, v20, v22
	v_cndmask_b32_e64 v22, v16, v20, s[8:9]
	v_cndmask_b32_e64 v20, v20, v22, s[10:11]
	v_cndmask_b32_e64 v22, v15, 0, s[0:1]
	v_cndmask_b32_e64 v23, 0, v18, s[4:5]
	v_bfi_b32 v22, s87, v22, v23
	v_cndmask_b32_e64 v20, v20, v21, s[6:7]
	s_or_b64 s[0:1], s[2:3], s[88:89]
	v_cndmask_b32_e64 v20, v20, v22, s[0:1]
	s_or_b64 s[0:1], s[0:1], s[6:7]
	v_cndmask_b32_e64 v19, v19, 0, s[0:1]
	v_cmp_o_f64_e64 s[0:1], v[17:18], v[8:9]
	v_subrev_co_u32_e64 v10, s[2:3], s14, v10
	v_subb_co_u32_e64 v11, s[2:3], v11, v29, s[2:3]
	v_cmp_le_i32_e64 s[2:3], s33, v0
	s_or_b64 s[74:75], s[2:3], s[74:75]
	v_cndmask_b32_e64 v8, 0, v19, s[0:1]
	v_cndmask_b32_e64 v9, v16, v20, s[0:1]
	global_store_dwordx2 v[2:3], v[8:9], off
	v_add_co_u32_e64 v2, s[0:1], s20, v2
	v_addc_co_u32_e64 v3, s[0:1], v3, v30, s[0:1]
	s_andn2_b64 exec, exec, s[74:75]
	s_cbranch_execz .LBB32_7
.LBB32_3:                               ; =>This Inner Loop Header: Depth=1
	s_waitcnt lgkmcnt(0)
	v_cmp_le_i64_e64 s[0:1], s[26:27], v[0:1]
                                        ; implicit-def: $vgpr8_vgpr9
	s_and_saveexec_b64 s[2:3], s[0:1]
	s_xor_b64 s[0:1], exec, s[2:3]
	s_cbranch_execz .LBB32_5
; %bb.4:                                ;   in Loop: Header=BB32_3 Depth=1
	v_cvt_f64_i32_e32 v[8:9], v11
	v_cvt_f64_u32_e32 v[17:18], v10
	v_ldexp_f64 v[8:9], v[8:9], 32
	v_add_f64 v[8:9], v[8:9], v[17:18]
	v_mov_b32_e32 v17, s18
	v_mov_b32_e32 v18, s19
	v_fma_f64 v[8:9], -s[24:25], v[8:9], v[17:18]
.LBB32_5:                               ;   in Loop: Header=BB32_3 Depth=1
	s_andn2_saveexec_b64 s[0:1], s[0:1]
	s_cbranch_execz .LBB32_2
; %bb.6:                                ;   in Loop: Header=BB32_3 Depth=1
	v_cvt_f64_i32_e32 v[8:9], v0
	v_mov_b32_e32 v18, s17
	v_mov_b32_e32 v17, s16
	v_fma_f64 v[8:9], s[24:25], v[8:9], v[17:18]
	s_branch .LBB32_2
.LBB32_7:
	s_endpgm
	.section	.rodata,"a",@progbits
	.p2align	6, 0x0
	.amdhsa_kernel _ZN12_GLOBAL__N_141elementwise_kernel_with_index_grid_strideIiZZZN2at6native17logspace_cuda_outERKN3c106ScalarES6_ldRNS1_6TensorEENKUlvE0_clEvENKUlvE_clEvEUllE_EEvT_T0_PN15function_traitsISD_E11result_typeE
		.amdhsa_group_segment_fixed_size 0
		.amdhsa_private_segment_fixed_size 0
		.amdhsa_kernarg_size 320
		.amdhsa_user_sgpr_count 6
		.amdhsa_user_sgpr_private_segment_buffer 1
		.amdhsa_user_sgpr_dispatch_ptr 0
		.amdhsa_user_sgpr_queue_ptr 0
		.amdhsa_user_sgpr_kernarg_segment_ptr 1
		.amdhsa_user_sgpr_dispatch_id 0
		.amdhsa_user_sgpr_flat_scratch_init 0
		.amdhsa_user_sgpr_private_segment_size 0
		.amdhsa_uses_dynamic_stack 0
		.amdhsa_system_sgpr_private_segment_wavefront_offset 0
		.amdhsa_system_sgpr_workgroup_id_x 1
		.amdhsa_system_sgpr_workgroup_id_y 0
		.amdhsa_system_sgpr_workgroup_id_z 0
		.amdhsa_system_sgpr_workgroup_info 0
		.amdhsa_system_vgpr_workitem_id 0
		.amdhsa_next_free_vgpr 35
		.amdhsa_next_free_sgpr 90
		.amdhsa_reserve_vcc 1
		.amdhsa_reserve_flat_scratch 0
		.amdhsa_float_round_mode_32 0
		.amdhsa_float_round_mode_16_64 0
		.amdhsa_float_denorm_mode_32 3
		.amdhsa_float_denorm_mode_16_64 3
		.amdhsa_dx10_clamp 1
		.amdhsa_ieee_mode 1
		.amdhsa_fp16_overflow 0
		.amdhsa_exception_fp_ieee_invalid_op 0
		.amdhsa_exception_fp_denorm_src 0
		.amdhsa_exception_fp_ieee_div_zero 0
		.amdhsa_exception_fp_ieee_overflow 0
		.amdhsa_exception_fp_ieee_underflow 0
		.amdhsa_exception_fp_ieee_inexact 0
		.amdhsa_exception_int_div_zero 0
	.end_amdhsa_kernel
	.section	.text._ZN12_GLOBAL__N_141elementwise_kernel_with_index_grid_strideIiZZZN2at6native17logspace_cuda_outERKN3c106ScalarES6_ldRNS1_6TensorEENKUlvE0_clEvENKUlvE_clEvEUllE_EEvT_T0_PN15function_traitsISD_E11result_typeE,"axG",@progbits,_ZN12_GLOBAL__N_141elementwise_kernel_with_index_grid_strideIiZZZN2at6native17logspace_cuda_outERKN3c106ScalarES6_ldRNS1_6TensorEENKUlvE0_clEvENKUlvE_clEvEUllE_EEvT_T0_PN15function_traitsISD_E11result_typeE,comdat
.Lfunc_end32:
	.size	_ZN12_GLOBAL__N_141elementwise_kernel_with_index_grid_strideIiZZZN2at6native17logspace_cuda_outERKN3c106ScalarES6_ldRNS1_6TensorEENKUlvE0_clEvENKUlvE_clEvEUllE_EEvT_T0_PN15function_traitsISD_E11result_typeE, .Lfunc_end32-_ZN12_GLOBAL__N_141elementwise_kernel_with_index_grid_strideIiZZZN2at6native17logspace_cuda_outERKN3c106ScalarES6_ldRNS1_6TensorEENKUlvE0_clEvENKUlvE_clEvEUllE_EEvT_T0_PN15function_traitsISD_E11result_typeE
                                        ; -- End function
	.set _ZN12_GLOBAL__N_141elementwise_kernel_with_index_grid_strideIiZZZN2at6native17logspace_cuda_outERKN3c106ScalarES6_ldRNS1_6TensorEENKUlvE0_clEvENKUlvE_clEvEUllE_EEvT_T0_PN15function_traitsISD_E11result_typeE.num_vgpr, 35
	.set _ZN12_GLOBAL__N_141elementwise_kernel_with_index_grid_strideIiZZZN2at6native17logspace_cuda_outERKN3c106ScalarES6_ldRNS1_6TensorEENKUlvE0_clEvENKUlvE_clEvEUllE_EEvT_T0_PN15function_traitsISD_E11result_typeE.num_agpr, 0
	.set _ZN12_GLOBAL__N_141elementwise_kernel_with_index_grid_strideIiZZZN2at6native17logspace_cuda_outERKN3c106ScalarES6_ldRNS1_6TensorEENKUlvE0_clEvENKUlvE_clEvEUllE_EEvT_T0_PN15function_traitsISD_E11result_typeE.numbered_sgpr, 90
	.set _ZN12_GLOBAL__N_141elementwise_kernel_with_index_grid_strideIiZZZN2at6native17logspace_cuda_outERKN3c106ScalarES6_ldRNS1_6TensorEENKUlvE0_clEvENKUlvE_clEvEUllE_EEvT_T0_PN15function_traitsISD_E11result_typeE.num_named_barrier, 0
	.set _ZN12_GLOBAL__N_141elementwise_kernel_with_index_grid_strideIiZZZN2at6native17logspace_cuda_outERKN3c106ScalarES6_ldRNS1_6TensorEENKUlvE0_clEvENKUlvE_clEvEUllE_EEvT_T0_PN15function_traitsISD_E11result_typeE.private_seg_size, 0
	.set _ZN12_GLOBAL__N_141elementwise_kernel_with_index_grid_strideIiZZZN2at6native17logspace_cuda_outERKN3c106ScalarES6_ldRNS1_6TensorEENKUlvE0_clEvENKUlvE_clEvEUllE_EEvT_T0_PN15function_traitsISD_E11result_typeE.uses_vcc, 1
	.set _ZN12_GLOBAL__N_141elementwise_kernel_with_index_grid_strideIiZZZN2at6native17logspace_cuda_outERKN3c106ScalarES6_ldRNS1_6TensorEENKUlvE0_clEvENKUlvE_clEvEUllE_EEvT_T0_PN15function_traitsISD_E11result_typeE.uses_flat_scratch, 0
	.set _ZN12_GLOBAL__N_141elementwise_kernel_with_index_grid_strideIiZZZN2at6native17logspace_cuda_outERKN3c106ScalarES6_ldRNS1_6TensorEENKUlvE0_clEvENKUlvE_clEvEUllE_EEvT_T0_PN15function_traitsISD_E11result_typeE.has_dyn_sized_stack, 0
	.set _ZN12_GLOBAL__N_141elementwise_kernel_with_index_grid_strideIiZZZN2at6native17logspace_cuda_outERKN3c106ScalarES6_ldRNS1_6TensorEENKUlvE0_clEvENKUlvE_clEvEUllE_EEvT_T0_PN15function_traitsISD_E11result_typeE.has_recursion, 0
	.set _ZN12_GLOBAL__N_141elementwise_kernel_with_index_grid_strideIiZZZN2at6native17logspace_cuda_outERKN3c106ScalarES6_ldRNS1_6TensorEENKUlvE0_clEvENKUlvE_clEvEUllE_EEvT_T0_PN15function_traitsISD_E11result_typeE.has_indirect_call, 0
	.section	.AMDGPU.csdata,"",@progbits
; Kernel info:
; codeLenInByte = 2312
; TotalNumSgprs: 94
; NumVgprs: 35
; ScratchSize: 0
; MemoryBound: 0
; FloatMode: 240
; IeeeMode: 1
; LDSByteSize: 0 bytes/workgroup (compile time only)
; SGPRBlocks: 11
; VGPRBlocks: 8
; NumSGPRsForWavesPerEU: 94
; NumVGPRsForWavesPerEU: 35
; Occupancy: 7
; WaveLimiterHint : 0
; COMPUTE_PGM_RSRC2:SCRATCH_EN: 0
; COMPUTE_PGM_RSRC2:USER_SGPR: 6
; COMPUTE_PGM_RSRC2:TRAP_HANDLER: 0
; COMPUTE_PGM_RSRC2:TGID_X_EN: 1
; COMPUTE_PGM_RSRC2:TGID_Y_EN: 0
; COMPUTE_PGM_RSRC2:TGID_Z_EN: 0
; COMPUTE_PGM_RSRC2:TIDIG_COMP_CNT: 0
	.section	.text._ZN12_GLOBAL__N_141elementwise_kernel_with_index_grid_strideIlZZZN2at6native17logspace_cuda_outERKN3c106ScalarES6_ldRNS1_6TensorEENKUlvE0_clEvENKUlvE_clEvEUllE_EEvT_T0_PN15function_traitsISD_E11result_typeE,"axG",@progbits,_ZN12_GLOBAL__N_141elementwise_kernel_with_index_grid_strideIlZZZN2at6native17logspace_cuda_outERKN3c106ScalarES6_ldRNS1_6TensorEENKUlvE0_clEvENKUlvE_clEvEUllE_EEvT_T0_PN15function_traitsISD_E11result_typeE,comdat
	.globl	_ZN12_GLOBAL__N_141elementwise_kernel_with_index_grid_strideIlZZZN2at6native17logspace_cuda_outERKN3c106ScalarES6_ldRNS1_6TensorEENKUlvE0_clEvENKUlvE_clEvEUllE_EEvT_T0_PN15function_traitsISD_E11result_typeE ; -- Begin function _ZN12_GLOBAL__N_141elementwise_kernel_with_index_grid_strideIlZZZN2at6native17logspace_cuda_outERKN3c106ScalarES6_ldRNS1_6TensorEENKUlvE0_clEvENKUlvE_clEvEUllE_EEvT_T0_PN15function_traitsISD_E11result_typeE
	.p2align	8
	.type	_ZN12_GLOBAL__N_141elementwise_kernel_with_index_grid_strideIlZZZN2at6native17logspace_cuda_outERKN3c106ScalarES6_ldRNS1_6TensorEENKUlvE0_clEvENKUlvE_clEvEUllE_EEvT_T0_PN15function_traitsISD_E11result_typeE,@function
_ZN12_GLOBAL__N_141elementwise_kernel_with_index_grid_strideIlZZZN2at6native17logspace_cuda_outERKN3c106ScalarES6_ldRNS1_6TensorEENKUlvE0_clEvENKUlvE_clEvEUllE_EEvT_T0_PN15function_traitsISD_E11result_typeE: ; @_ZN12_GLOBAL__N_141elementwise_kernel_with_index_grid_strideIlZZZN2at6native17logspace_cuda_outERKN3c106ScalarES6_ldRNS1_6TensorEENKUlvE0_clEvENKUlvE_clEvEUllE_EEvT_T0_PN15function_traitsISD_E11result_typeE
; %bb.0:
	s_load_dword s2, s[4:5], 0x4c
	s_load_dwordx16 s[8:23], s[4:5], 0x0
	s_add_u32 s0, s4, 64
	s_addc_u32 s1, s5, 0
	v_mov_b32_e32 v1, 0
	s_waitcnt lgkmcnt(0)
	s_and_b32 s2, s2, 0xffff
	v_mov_b32_e32 v2, s6
	v_mad_u64_u32 v[0:1], s[4:5], s2, v2, v[0:1]
	v_cmp_gt_i64_e32 vcc, s[8:9], v[0:1]
	s_and_saveexec_b64 s[4:5], vcc
	s_cbranch_execz .LBB33_7
; %bb.1:
	v_not_b32_e32 v3, v0
	v_not_b32_e32 v2, v1
	v_mov_b32_e32 v4, s17
	v_add_co_u32_e32 v12, vcc, s16, v3
	v_addc_co_u32_e32 v13, vcc, v2, v4, vcc
	v_lshlrev_b64 v[2:3], 3, v[0:1]
	v_mov_b32_e32 v4, s23
	v_add_co_u32_e32 v2, vcc, s22, v2
	v_addc_co_u32_e32 v3, vcc, v4, v3, vcc
	v_cmp_eq_f64_e64 vcc, s[14:15], 1.0
	s_load_dword s0, s[0:1], 0x0
	s_mov_b32 s16, 0x55555555
	s_mov_b32 s22, 0x4222de17
	;; [unrolled: 1-line block ×4, first 2 shown]
	s_waitcnt lgkmcnt(0)
	s_mul_hi_u32 s25, s2, s0
	s_mul_i32 s24, s2, s0
	s_mov_b32 s30, 0xcfa74449
	s_mov_b32 s34, 0x71bf3c30
	;; [unrolled: 1-line block ×21, first 2 shown]
	v_mov_b32_e32 v14, 0x3ff00000
	v_mov_b32_e32 v15, s15
	;; [unrolled: 1-line block ×3, first 2 shown]
	s_mov_b32 s17, 0x3fe55555
	v_mov_b32_e32 v4, 0x968915a9
	v_mov_b32_e32 v5, 0x3fba6564
	s_mov_b32 s23, 0x3fbdee67
	s_mov_b32 s27, 0x3fbe25e4
	;; [unrolled: 1-line block ×21, first 2 shown]
	v_mov_b32_e32 v6, 0xfca7ab0c
	v_mov_b32_e32 v7, 0x3e928af3
	;; [unrolled: 1-line block ×4, first 2 shown]
	s_movk_i32 s33, 0x204
	s_brev_b32 s82, -2
	s_lshl_b64 s[14:15], s[24:25], 3
	s_mov_b64 s[68:69], 0
	s_mov_b32 s71, 0xbfe55555
	s_mov_b32 s73, 0x7ff00000
	;; [unrolled: 1-line block ×6, first 2 shown]
	s_branch .LBB33_3
.LBB33_2:                               ;   in Loop: Header=BB33_3 Depth=1
	s_or_b64 exec, exec, s[0:1]
	v_cndmask_b32_e32 v9, v9, v14, vcc
	v_cndmask_b32_e64 v8, v8, 0, vcc
	v_cmp_neq_f64_e64 s[0:1], 0, v[8:9]
	s_mov_b32 s70, s16
	s_mov_b32 s74, s42
	;; [unrolled: 1-line block ×3, first 2 shown]
	v_cmp_neq_f64_e64 s[2:3], v[8:9], |v[8:9]|
	v_cndmask_b32_e64 v11, v14, v15, s[0:1]
	v_cndmask_b32_e64 v10, 0, v16, s[0:1]
	v_frexp_mant_f64_e64 v[19:20], |v[10:11]|
	v_cmp_lt_f64_e64 s[4:5], |v[10:11]|, 1.0
	v_cmp_gt_f64_e64 s[0:1], s[16:17], v[19:20]
	s_xor_b64 s[6:7], s[2:3], s[4:5]
	v_cndmask_b32_e64 v21, 0, 1, s[0:1]
	v_ldexp_f64 v[19:20], v[19:20], v21
	v_add_f64 v[21:22], v[19:20], 1.0
	v_add_f64 v[27:28], v[19:20], -1.0
	v_rcp_f64_e32 v[23:24], v[21:22]
	v_add_f64 v[29:30], v[21:22], -1.0
	v_add_f64 v[19:20], v[19:20], -v[29:30]
	v_fma_f64 v[25:26], -v[21:22], v[23:24], 1.0
	v_fma_f64 v[23:24], v[25:26], v[23:24], v[23:24]
	v_fma_f64 v[25:26], -v[21:22], v[23:24], 1.0
	v_fma_f64 v[23:24], v[25:26], v[23:24], v[23:24]
	v_mul_f64 v[25:26], v[27:28], v[23:24]
	v_mul_f64 v[31:32], v[21:22], v[25:26]
	v_fma_f64 v[21:22], v[25:26], v[21:22], -v[31:32]
	v_fma_f64 v[19:20], v[25:26], v[19:20], v[21:22]
	v_add_f64 v[21:22], v[31:32], v[19:20]
	v_add_f64 v[29:30], v[27:28], -v[21:22]
	v_add_f64 v[31:32], v[21:22], -v[31:32]
	;; [unrolled: 1-line block ×5, first 2 shown]
	v_add_f64 v[19:20], v[19:20], v[21:22]
	v_add_f64 v[19:20], v[29:30], v[19:20]
	v_mul_f64 v[19:20], v[23:24], v[19:20]
	v_add_f64 v[21:22], v[25:26], v[19:20]
	v_add_f64 v[23:24], v[21:22], -v[25:26]
	v_mul_f64 v[25:26], v[21:22], v[21:22]
	v_add_f64 v[19:20], v[19:20], -v[23:24]
	v_fma_f64 v[23:24], v[21:22], v[21:22], -v[25:26]
	v_add_f64 v[27:28], v[19:20], v[19:20]
	v_fma_f64 v[23:24], v[21:22], v[27:28], v[23:24]
	v_add_f64 v[27:28], v[25:26], v[23:24]
	v_fma_f64 v[29:30], v[27:28], s[22:23], v[4:5]
	v_add_f64 v[25:26], v[27:28], -v[25:26]
	v_mul_f64 v[35:36], v[21:22], v[27:28]
	v_fma_f64 v[29:30], v[27:28], v[29:30], s[26:27]
	v_add_f64 v[23:24], v[23:24], -v[25:26]
	v_fma_f64 v[29:30], v[27:28], v[29:30], s[28:29]
	v_fma_f64 v[29:30], v[27:28], v[29:30], s[30:31]
	;; [unrolled: 1-line block ×6, first 2 shown]
	v_mul_f64 v[31:32], v[27:28], v[29:30]
	v_fma_f64 v[25:26], v[27:28], v[29:30], -v[31:32]
	v_fma_f64 v[25:26], v[23:24], v[29:30], v[25:26]
	v_add_f64 v[29:30], v[31:32], v[25:26]
	v_add_f64 v[33:34], v[29:30], s[16:17]
	v_add_f64 v[31:32], v[29:30], -v[31:32]
	v_add_f64 v[37:38], v[33:34], s[70:71]
	v_add_f64 v[25:26], v[25:26], -v[31:32]
	v_fma_f64 v[31:32], v[27:28], v[21:22], -v[35:36]
	v_add_f64 v[29:30], v[29:30], -v[37:38]
	v_add_f64 v[25:26], v[25:26], s[46:47]
	v_fma_f64 v[27:28], v[27:28], v[19:20], v[31:32]
	v_ldexp_f64 v[19:20], v[19:20], 1
	v_add_f64 v[25:26], v[25:26], v[29:30]
	v_fma_f64 v[23:24], v[23:24], v[21:22], v[27:28]
	v_ldexp_f64 v[21:22], v[21:22], 1
	v_add_f64 v[27:28], v[33:34], v[25:26]
	v_add_f64 v[29:30], v[35:36], v[23:24]
	v_add_f64 v[31:32], v[33:34], -v[27:28]
	v_mul_f64 v[33:34], v[29:30], v[27:28]
	v_add_f64 v[35:36], v[29:30], -v[35:36]
	v_add_f64 v[25:26], v[25:26], v[31:32]
	v_fma_f64 v[31:32], v[29:30], v[27:28], -v[33:34]
	v_add_f64 v[23:24], v[23:24], -v[35:36]
	v_fma_f64 v[25:26], v[29:30], v[25:26], v[31:32]
	v_fma_f64 v[23:24], v[23:24], v[27:28], v[25:26]
	v_frexp_exp_i32_f64_e32 v27, v[10:11]
	v_add_f64 v[25:26], v[33:34], v[23:24]
	v_subbrev_co_u32_e64 v31, s[0:1], 0, v27, s[0:1]
	v_cvt_f64_i32_e32 v[31:32], v31
	v_add_f64 v[27:28], v[21:22], v[25:26]
	v_add_f64 v[29:30], v[25:26], -v[33:34]
	v_mul_f64 v[33:34], v[31:32], s[42:43]
	v_add_f64 v[21:22], v[27:28], -v[21:22]
	v_add_f64 v[23:24], v[23:24], -v[29:30]
	v_fma_f64 v[29:30], v[31:32], s[42:43], -v[33:34]
	v_add_f64 v[21:22], v[25:26], -v[21:22]
	v_add_f64 v[19:20], v[19:20], v[23:24]
	v_fma_f64 v[23:24], v[31:32], s[44:45], v[29:30]
	v_add_f64 v[19:20], v[19:20], v[21:22]
	v_add_f64 v[21:22], v[33:34], v[23:24]
	;; [unrolled: 1-line block ×3, first 2 shown]
	v_add_f64 v[33:34], v[21:22], -v[33:34]
	v_add_f64 v[29:30], v[21:22], v[25:26]
	v_add_f64 v[27:28], v[25:26], -v[27:28]
	v_add_f64 v[23:24], v[23:24], -v[33:34]
	;; [unrolled: 1-line block ×6, first 2 shown]
	v_add_f64 v[27:28], v[23:24], v[19:20]
	v_add_f64 v[21:22], v[21:22], -v[35:36]
	v_add_f64 v[21:22], v[25:26], v[21:22]
	v_add_f64 v[25:26], v[27:28], -v[23:24]
	v_add_f64 v[21:22], v[27:28], v[21:22]
	v_add_f64 v[27:28], v[27:28], -v[25:26]
	v_add_f64 v[19:20], v[19:20], -v[25:26]
	v_add_f64 v[31:32], v[29:30], v[21:22]
	v_add_f64 v[23:24], v[23:24], -v[27:28]
	v_add_f64 v[25:26], v[31:32], -v[29:30]
	v_add_f64 v[19:20], v[19:20], v[23:24]
	v_add_f64 v[21:22], v[21:22], -v[25:26]
	v_add_f64 v[19:20], v[19:20], v[21:22]
	v_add_f64 v[21:22], v[31:32], v[19:20]
	v_mul_f64 v[23:24], v[8:9], v[21:22]
	v_add_f64 v[25:26], v[21:22], -v[31:32]
	v_fma_f64 v[21:22], v[8:9], v[21:22], -v[23:24]
	v_add_f64 v[19:20], v[19:20], -v[25:26]
	v_cmp_class_f64_e64 s[0:1], v[23:24], s33
	v_fma_f64 v[19:20], v[8:9], v[19:20], v[21:22]
	v_add_f64 v[21:22], v[23:24], v[19:20]
	v_cndmask_b32_e64 v26, v22, v24, s[0:1]
	v_cndmask_b32_e64 v25, v21, v23, s[0:1]
	v_mul_f64 v[27:28], v[25:26], s[48:49]
	v_add_f64 v[21:22], v[21:22], -v[23:24]
	v_mul_f64 v[23:24], v[8:9], 0.5
	v_add_co_u32_e64 v0, s[0:1], s24, v0
	v_cmp_nlt_f64_e64 s[2:3], s[76:77], v[25:26]
	v_cmp_ngt_f64_e64 s[4:5], s[78:79], v[25:26]
	v_rndne_f64_e32 v[27:28], v[27:28]
	v_add_f64 v[19:20], v[19:20], -v[21:22]
	v_trunc_f64_e32 v[21:22], v[23:24]
	v_fma_f64 v[29:30], v[27:28], s[74:75], v[25:26]
	v_fma_f64 v[29:30], v[27:28], s[80:81], v[29:30]
	v_cvt_i32_f64_e32 v27, v[27:28]
	v_fma_f64 v[31:32], v[29:30], s[50:51], v[6:7]
	v_fma_f64 v[31:32], v[29:30], v[31:32], s[52:53]
	;; [unrolled: 1-line block ×9, first 2 shown]
	v_fma_f64 v[31:32], v[29:30], v[31:32], 1.0
	v_fma_f64 v[29:30], v[29:30], v[31:32], 1.0
	v_mov_b32_e32 v31, s25
	v_addc_co_u32_e64 v1, s[0:1], v1, v31, s[0:1]
	v_cmp_neq_f64_e64 s[0:1], |v[25:26]|, s[72:73]
	v_ldexp_f64 v[27:28], v[29:30], v27
	v_cndmask_b32_e64 v20, 0, v20, s[0:1]
	v_cndmask_b32_e64 v19, 0, v19, s[0:1]
	v_cmp_gt_f64_e64 s[0:1], 0, v[8:9]
	v_cndmask_b32_e64 v28, v17, v28, s[2:3]
	v_cndmask_b32_e64 v26, 0, v28, s[4:5]
	s_and_b64 s[2:3], s[4:5], s[2:3]
	v_cmp_eq_f64_e64 s[4:5], 0, v[10:11]
	v_trunc_f64_e32 v[28:29], v[8:9]
	v_cndmask_b32_e64 v25, 0, v27, s[2:3]
	v_cmp_neq_f64_e64 s[2:3], v[21:22], v[23:24]
	v_cndmask_b32_e64 v21, v17, 0, s[6:7]
	v_cmp_neq_f64_e64 s[6:7], |v[10:11]|, 1.0
	v_fma_f64 v[19:20], v[25:26], v[19:20], v[25:26]
	s_xor_b64 s[0:1], s[0:1], s[4:5]
	v_cndmask_b32_e64 v22, v17, 0, s[0:1]
	v_cmp_class_f64_e64 s[0:1], v[25:26], s33
	v_cndmask_b32_e64 v21, v14, v21, s[6:7]
	v_cmp_eq_f64_e64 s[6:7], v[28:29], v[8:9]
	v_cndmask_b32_e64 v19, v19, v25, s[0:1]
	v_cndmask_b32_e64 v20, v20, v26, s[0:1]
	v_cmp_gt_f64_e64 s[0:1], 0, v[10:11]
	s_and_b64 s[2:3], s[6:7], s[2:3]
	v_cndmask_b32_e64 v24, v14, v11, s[2:3]
	v_bfi_b32 v20, s82, v20, v24
	v_cndmask_b32_e64 v23, 0, v19, s[6:7]
	v_cndmask_b32_e64 v24, v18, v20, s[6:7]
	v_cmp_class_f64_e64 s[6:7], v[10:11], s33
	v_cndmask_b32_e64 v19, v19, v23, s[0:1]
	v_cndmask_b32_e64 v20, v20, v24, s[0:1]
	v_cmp_class_f64_e64 s[0:1], v[8:9], s33
	v_cndmask_b32_e64 v24, 0, v11, s[2:3]
	v_bfi_b32 v22, s82, v22, v24
	v_mov_b32_e32 v23, s15
	s_or_b64 s[2:3], s[4:5], s[6:7]
	v_subrev_co_u32_e64 v12, s[4:5], s24, v12
	v_cndmask_b32_e64 v20, v20, v21, s[0:1]
	s_or_b64 s[0:1], s[2:3], s[0:1]
	v_cndmask_b32_e64 v19, v19, 0, s[0:1]
	v_cmp_o_f64_e64 s[0:1], v[10:11], v[8:9]
	v_cndmask_b32_e64 v20, v20, v22, s[2:3]
	v_cmp_le_i64_e64 s[2:3], s[8:9], v[0:1]
	v_subb_co_u32_e64 v13, s[4:5], v13, v31, s[4:5]
	s_or_b64 s[68:69], s[2:3], s[68:69]
	v_cndmask_b32_e64 v8, 0, v19, s[0:1]
	v_cndmask_b32_e64 v9, v18, v20, s[0:1]
	global_store_dwordx2 v[2:3], v[8:9], off
	v_add_co_u32_e64 v2, s[0:1], s14, v2
	v_addc_co_u32_e64 v3, s[0:1], v3, v23, s[0:1]
	s_andn2_b64 exec, exec, s[68:69]
	s_cbranch_execz .LBB33_7
.LBB33_3:                               ; =>This Inner Loop Header: Depth=1
	v_cmp_le_i64_e64 s[0:1], s[20:21], v[0:1]
                                        ; implicit-def: $vgpr8_vgpr9
	s_and_saveexec_b64 s[2:3], s[0:1]
	s_xor_b64 s[0:1], exec, s[2:3]
	s_cbranch_execz .LBB33_5
; %bb.4:                                ;   in Loop: Header=BB33_3 Depth=1
	v_cvt_f64_i32_e32 v[8:9], v13
	v_cvt_f64_u32_e32 v[10:11], v12
	v_ldexp_f64 v[8:9], v[8:9], 32
	v_add_f64 v[8:9], v[8:9], v[10:11]
	v_mov_b32_e32 v10, s12
	v_mov_b32_e32 v11, s13
	v_fma_f64 v[8:9], -s[18:19], v[8:9], v[10:11]
.LBB33_5:                               ;   in Loop: Header=BB33_3 Depth=1
	s_andn2_saveexec_b64 s[0:1], s[0:1]
	s_cbranch_execz .LBB33_2
; %bb.6:                                ;   in Loop: Header=BB33_3 Depth=1
	v_cvt_f64_u32_e32 v[8:9], v1
	v_cvt_f64_u32_e32 v[10:11], v0
	v_ldexp_f64 v[8:9], v[8:9], 32
	v_add_f64 v[8:9], v[8:9], v[10:11]
	v_mov_b32_e32 v10, s10
	v_mov_b32_e32 v11, s11
	v_fma_f64 v[8:9], s[18:19], v[8:9], v[10:11]
	s_branch .LBB33_2
.LBB33_7:
	s_endpgm
	.section	.rodata,"a",@progbits
	.p2align	6, 0x0
	.amdhsa_kernel _ZN12_GLOBAL__N_141elementwise_kernel_with_index_grid_strideIlZZZN2at6native17logspace_cuda_outERKN3c106ScalarES6_ldRNS1_6TensorEENKUlvE0_clEvENKUlvE_clEvEUllE_EEvT_T0_PN15function_traitsISD_E11result_typeE
		.amdhsa_group_segment_fixed_size 0
		.amdhsa_private_segment_fixed_size 0
		.amdhsa_kernarg_size 320
		.amdhsa_user_sgpr_count 6
		.amdhsa_user_sgpr_private_segment_buffer 1
		.amdhsa_user_sgpr_dispatch_ptr 0
		.amdhsa_user_sgpr_queue_ptr 0
		.amdhsa_user_sgpr_kernarg_segment_ptr 1
		.amdhsa_user_sgpr_dispatch_id 0
		.amdhsa_user_sgpr_flat_scratch_init 0
		.amdhsa_user_sgpr_private_segment_size 0
		.amdhsa_uses_dynamic_stack 0
		.amdhsa_system_sgpr_private_segment_wavefront_offset 0
		.amdhsa_system_sgpr_workgroup_id_x 1
		.amdhsa_system_sgpr_workgroup_id_y 0
		.amdhsa_system_sgpr_workgroup_id_z 0
		.amdhsa_system_sgpr_workgroup_info 0
		.amdhsa_system_vgpr_workitem_id 0
		.amdhsa_next_free_vgpr 39
		.amdhsa_next_free_sgpr 83
		.amdhsa_reserve_vcc 1
		.amdhsa_reserve_flat_scratch 0
		.amdhsa_float_round_mode_32 0
		.amdhsa_float_round_mode_16_64 0
		.amdhsa_float_denorm_mode_32 3
		.amdhsa_float_denorm_mode_16_64 3
		.amdhsa_dx10_clamp 1
		.amdhsa_ieee_mode 1
		.amdhsa_fp16_overflow 0
		.amdhsa_exception_fp_ieee_invalid_op 0
		.amdhsa_exception_fp_denorm_src 0
		.amdhsa_exception_fp_ieee_div_zero 0
		.amdhsa_exception_fp_ieee_overflow 0
		.amdhsa_exception_fp_ieee_underflow 0
		.amdhsa_exception_fp_ieee_inexact 0
		.amdhsa_exception_int_div_zero 0
	.end_amdhsa_kernel
	.section	.text._ZN12_GLOBAL__N_141elementwise_kernel_with_index_grid_strideIlZZZN2at6native17logspace_cuda_outERKN3c106ScalarES6_ldRNS1_6TensorEENKUlvE0_clEvENKUlvE_clEvEUllE_EEvT_T0_PN15function_traitsISD_E11result_typeE,"axG",@progbits,_ZN12_GLOBAL__N_141elementwise_kernel_with_index_grid_strideIlZZZN2at6native17logspace_cuda_outERKN3c106ScalarES6_ldRNS1_6TensorEENKUlvE0_clEvENKUlvE_clEvEUllE_EEvT_T0_PN15function_traitsISD_E11result_typeE,comdat
.Lfunc_end33:
	.size	_ZN12_GLOBAL__N_141elementwise_kernel_with_index_grid_strideIlZZZN2at6native17logspace_cuda_outERKN3c106ScalarES6_ldRNS1_6TensorEENKUlvE0_clEvENKUlvE_clEvEUllE_EEvT_T0_PN15function_traitsISD_E11result_typeE, .Lfunc_end33-_ZN12_GLOBAL__N_141elementwise_kernel_with_index_grid_strideIlZZZN2at6native17logspace_cuda_outERKN3c106ScalarES6_ldRNS1_6TensorEENKUlvE0_clEvENKUlvE_clEvEUllE_EEvT_T0_PN15function_traitsISD_E11result_typeE
                                        ; -- End function
	.set _ZN12_GLOBAL__N_141elementwise_kernel_with_index_grid_strideIlZZZN2at6native17logspace_cuda_outERKN3c106ScalarES6_ldRNS1_6TensorEENKUlvE0_clEvENKUlvE_clEvEUllE_EEvT_T0_PN15function_traitsISD_E11result_typeE.num_vgpr, 39
	.set _ZN12_GLOBAL__N_141elementwise_kernel_with_index_grid_strideIlZZZN2at6native17logspace_cuda_outERKN3c106ScalarES6_ldRNS1_6TensorEENKUlvE0_clEvENKUlvE_clEvEUllE_EEvT_T0_PN15function_traitsISD_E11result_typeE.num_agpr, 0
	.set _ZN12_GLOBAL__N_141elementwise_kernel_with_index_grid_strideIlZZZN2at6native17logspace_cuda_outERKN3c106ScalarES6_ldRNS1_6TensorEENKUlvE0_clEvENKUlvE_clEvEUllE_EEvT_T0_PN15function_traitsISD_E11result_typeE.numbered_sgpr, 83
	.set _ZN12_GLOBAL__N_141elementwise_kernel_with_index_grid_strideIlZZZN2at6native17logspace_cuda_outERKN3c106ScalarES6_ldRNS1_6TensorEENKUlvE0_clEvENKUlvE_clEvEUllE_EEvT_T0_PN15function_traitsISD_E11result_typeE.num_named_barrier, 0
	.set _ZN12_GLOBAL__N_141elementwise_kernel_with_index_grid_strideIlZZZN2at6native17logspace_cuda_outERKN3c106ScalarES6_ldRNS1_6TensorEENKUlvE0_clEvENKUlvE_clEvEUllE_EEvT_T0_PN15function_traitsISD_E11result_typeE.private_seg_size, 0
	.set _ZN12_GLOBAL__N_141elementwise_kernel_with_index_grid_strideIlZZZN2at6native17logspace_cuda_outERKN3c106ScalarES6_ldRNS1_6TensorEENKUlvE0_clEvENKUlvE_clEvEUllE_EEvT_T0_PN15function_traitsISD_E11result_typeE.uses_vcc, 1
	.set _ZN12_GLOBAL__N_141elementwise_kernel_with_index_grid_strideIlZZZN2at6native17logspace_cuda_outERKN3c106ScalarES6_ldRNS1_6TensorEENKUlvE0_clEvENKUlvE_clEvEUllE_EEvT_T0_PN15function_traitsISD_E11result_typeE.uses_flat_scratch, 0
	.set _ZN12_GLOBAL__N_141elementwise_kernel_with_index_grid_strideIlZZZN2at6native17logspace_cuda_outERKN3c106ScalarES6_ldRNS1_6TensorEENKUlvE0_clEvENKUlvE_clEvEUllE_EEvT_T0_PN15function_traitsISD_E11result_typeE.has_dyn_sized_stack, 0
	.set _ZN12_GLOBAL__N_141elementwise_kernel_with_index_grid_strideIlZZZN2at6native17logspace_cuda_outERKN3c106ScalarES6_ldRNS1_6TensorEENKUlvE0_clEvENKUlvE_clEvEUllE_EEvT_T0_PN15function_traitsISD_E11result_typeE.has_recursion, 0
	.set _ZN12_GLOBAL__N_141elementwise_kernel_with_index_grid_strideIlZZZN2at6native17logspace_cuda_outERKN3c106ScalarES6_ldRNS1_6TensorEENKUlvE0_clEvENKUlvE_clEvEUllE_EEvT_T0_PN15function_traitsISD_E11result_typeE.has_indirect_call, 0
	.section	.AMDGPU.csdata,"",@progbits
; Kernel info:
; codeLenInByte = 2304
; TotalNumSgprs: 87
; NumVgprs: 39
; ScratchSize: 0
; MemoryBound: 0
; FloatMode: 240
; IeeeMode: 1
; LDSByteSize: 0 bytes/workgroup (compile time only)
; SGPRBlocks: 10
; VGPRBlocks: 9
; NumSGPRsForWavesPerEU: 87
; NumVGPRsForWavesPerEU: 39
; Occupancy: 6
; WaveLimiterHint : 0
; COMPUTE_PGM_RSRC2:SCRATCH_EN: 0
; COMPUTE_PGM_RSRC2:USER_SGPR: 6
; COMPUTE_PGM_RSRC2:TRAP_HANDLER: 0
; COMPUTE_PGM_RSRC2:TGID_X_EN: 1
; COMPUTE_PGM_RSRC2:TGID_Y_EN: 0
; COMPUTE_PGM_RSRC2:TGID_Z_EN: 0
; COMPUTE_PGM_RSRC2:TIDIG_COMP_CNT: 0
	.section	.text._ZN12_GLOBAL__N_141elementwise_kernel_with_index_grid_strideIiZZZN2at6native17logspace_cuda_outERKN3c106ScalarES6_ldRNS1_6TensorEENKUlvE0_clEvENKUlvE0_clEvEUllE_EEvT_T0_PN15function_traitsISD_E11result_typeE,"axG",@progbits,_ZN12_GLOBAL__N_141elementwise_kernel_with_index_grid_strideIiZZZN2at6native17logspace_cuda_outERKN3c106ScalarES6_ldRNS1_6TensorEENKUlvE0_clEvENKUlvE0_clEvEUllE_EEvT_T0_PN15function_traitsISD_E11result_typeE,comdat
	.globl	_ZN12_GLOBAL__N_141elementwise_kernel_with_index_grid_strideIiZZZN2at6native17logspace_cuda_outERKN3c106ScalarES6_ldRNS1_6TensorEENKUlvE0_clEvENKUlvE0_clEvEUllE_EEvT_T0_PN15function_traitsISD_E11result_typeE ; -- Begin function _ZN12_GLOBAL__N_141elementwise_kernel_with_index_grid_strideIiZZZN2at6native17logspace_cuda_outERKN3c106ScalarES6_ldRNS1_6TensorEENKUlvE0_clEvENKUlvE0_clEvEUllE_EEvT_T0_PN15function_traitsISD_E11result_typeE
	.p2align	8
	.type	_ZN12_GLOBAL__N_141elementwise_kernel_with_index_grid_strideIiZZZN2at6native17logspace_cuda_outERKN3c106ScalarES6_ldRNS1_6TensorEENKUlvE0_clEvENKUlvE0_clEvEUllE_EEvT_T0_PN15function_traitsISD_E11result_typeE,@function
_ZN12_GLOBAL__N_141elementwise_kernel_with_index_grid_strideIiZZZN2at6native17logspace_cuda_outERKN3c106ScalarES6_ldRNS1_6TensorEENKUlvE0_clEvENKUlvE0_clEvEUllE_EEvT_T0_PN15function_traitsISD_E11result_typeE: ; @_ZN12_GLOBAL__N_141elementwise_kernel_with_index_grid_strideIiZZZN2at6native17logspace_cuda_outERKN3c106ScalarES6_ldRNS1_6TensorEENKUlvE0_clEvENKUlvE0_clEvEUllE_EEvT_T0_PN15function_traitsISD_E11result_typeE
; %bb.0:
	s_load_dword s2, s[4:5], 0x44
	s_load_dword s18, s[4:5], 0x0
	s_add_u32 s0, s4, 56
	s_addc_u32 s1, s5, 0
	s_waitcnt lgkmcnt(0)
	s_and_b32 s2, s2, 0xffff
	s_mul_i32 s6, s6, s2
	v_add_u32_e32 v0, s6, v0
	v_cmp_gt_i32_e32 vcc, s18, v0
	s_and_saveexec_b64 s[6:7], vcc
	s_cbranch_execz .LBB34_7
; %bb.1:
	s_load_dword s3, s[0:1], 0x0
	s_load_dwordx4 s[8:11], s[4:5], 0x8
	s_load_dwordx2 s[16:17], s[4:5], 0x18
	s_waitcnt lgkmcnt(0)
	s_load_dword s11, s[4:5], 0x20
	s_load_dwordx4 s[12:15], s[4:5], 0x28
	v_ashrrev_i32_e32 v1, 31, v0
	v_not_b32_e32 v2, v0
	v_not_b32_e32 v3, v1
	v_mov_b32_e32 v4, s17
	v_add_co_u32_e32 v2, vcc, s16, v2
	v_addc_co_u32_e32 v3, vcc, v3, v4, vcc
	v_lshlrev_b64 v[4:5], 2, v[0:1]
	s_mul_i32 s4, s3, s2
	s_ashr_i32 s5, s4, 31
	s_waitcnt lgkmcnt(0)
	v_mov_b32_e32 v6, s15
	v_add_co_u32_e32 v4, vcc, s14, v4
	v_cmp_eq_f32_e64 s[6:7], s10, 1.0
	v_addc_co_u32_e32 v5, vcc, v6, v5, vcc
	s_lshl_b64 s[14:15], s[4:5], 2
	s_mov_b64 s[16:17], 0
	v_mov_b32_e32 v6, s10
	s_mov_b32 s10, 0x3f2aaaab
	v_mov_b32_e32 v7, 0x3ecccdef
	s_mov_b32 s19, 0x3f317218
	s_movk_i32 s20, 0x204
	s_mov_b32 s21, 0x7f800000
	s_mov_b32 s22, 0x42b17218
	;; [unrolled: 1-line block ×4, first 2 shown]
	s_brev_b32 s25, -2
	v_mov_b32_e32 v8, 0x37000000
	v_mov_b32_e32 v9, 0x7f800000
	;; [unrolled: 1-line block ×3, first 2 shown]
                                        ; kill: killed $sgpr0 killed $sgpr1
	s_branch .LBB34_3
.LBB34_2:                               ;   in Loop: Header=BB34_3 Depth=1
	s_or_b64 exec, exec, s[0:1]
	v_cndmask_b32_e64 v13, v11, 1.0, s[6:7]
	v_cmp_neq_f32_e32 vcc, 0, v13
	v_cndmask_b32_e32 v14, 1.0, v6, vcc
	v_frexp_mant_f32_e64 v11, |v14|
	v_cmp_gt_f32_e32 vcc, s10, v11
	v_cndmask_b32_e64 v12, 1.0, 2.0, vcc
	v_mul_f32_e32 v11, v11, v12
	v_add_f32_e32 v12, 1.0, v11
	v_rcp_f32_e32 v15, v12
	v_add_f32_e32 v16, -1.0, v11
	v_add_f32_e32 v17, -1.0, v12
	v_sub_f32_e32 v11, v11, v17
	v_mul_f32_e32 v17, v16, v15
	v_mul_f32_e32 v18, v12, v17
	v_fma_f32 v12, v17, v12, -v18
	v_fmac_f32_e32 v12, v17, v11
	v_add_f32_e32 v11, v18, v12
	v_sub_f32_e32 v19, v16, v11
	v_sub_f32_e32 v18, v11, v18
	v_sub_f32_e32 v16, v16, v19
	v_sub_f32_e32 v11, v16, v11
	v_sub_f32_e32 v12, v18, v12
	v_add_f32_e32 v11, v12, v11
	v_add_f32_e32 v11, v19, v11
	v_mul_f32_e32 v11, v15, v11
	v_add_f32_e32 v15, v17, v11
	v_sub_f32_e32 v12, v15, v17
	v_sub_f32_e32 v16, v11, v12
	v_mul_f32_e32 v11, v15, v15
	v_fma_f32 v12, v15, v15, -v11
	v_add_f32_e32 v17, v16, v16
	v_fmac_f32_e32 v12, v15, v17
	v_add_f32_e32 v17, v11, v12
	v_mov_b32_e32 v18, 0x3e91f4c4
	v_fmac_f32_e32 v18, 0x3e76c4e1, v17
	v_fma_f32 v18, v17, v18, v7
	v_sub_f32_e32 v11, v17, v11
	v_mul_f32_e32 v19, v15, v17
	v_sub_f32_e32 v11, v12, v11
	v_fma_f32 v20, v17, v15, -v19
	v_mul_f32_e32 v12, v17, v18
	v_fmac_f32_e32 v20, v17, v16
	v_fma_f32 v17, v17, v18, -v12
	v_fmac_f32_e32 v17, v11, v18
	v_fmac_f32_e32 v20, v11, v15
	v_add_f32_e32 v11, v12, v17
	v_sub_f32_e32 v12, v11, v12
	v_sub_f32_e32 v12, v17, v12
	v_add_f32_e32 v17, 0x3f2aaaaa, v11
	v_add_f32_e32 v18, 0xbf2aaaaa, v17
	v_sub_f32_e32 v11, v11, v18
	v_add_f32_e32 v12, 0x31739010, v12
	v_add_f32_e32 v11, v12, v11
	;; [unrolled: 1-line block ×3, first 2 shown]
	v_sub_f32_e32 v12, v17, v18
	v_add_f32_e32 v17, v11, v12
	v_cvt_f64_f32_e64 v[11:12], |v14|
	v_ldexp_f32 v15, v15, 1
	v_cmp_neq_f32_e64 s[2:3], v13, |v13|
	v_cmp_lt_f32_e64 s[26:27], |v14|, 1.0
	v_frexp_exp_i32_f64_e32 v11, v[11:12]
	v_add_f32_e32 v12, v19, v20
	v_mul_f32_e32 v21, v12, v18
	v_fma_f32 v22, v12, v18, -v21
	v_fmac_f32_e32 v22, v12, v17
	v_sub_f32_e32 v12, v12, v19
	v_sub_f32_e32 v12, v20, v12
	v_fmac_f32_e32 v22, v12, v18
	v_subbrev_co_u32_e32 v11, vcc, 0, v11, vcc
	v_cvt_f32_i32_e32 v11, v11
	s_xor_b64 s[2:3], s[2:3], s[26:27]
	v_cmp_class_f32_e64 s[26:27], v14, s20
	v_mul_f32_e32 v12, 0x3f317218, v11
	v_fma_f32 v17, v11, s19, -v12
	v_fmac_f32_e32 v17, 0xb102e308, v11
	v_ldexp_f32 v11, v16, 1
	v_add_f32_e32 v16, v12, v17
	v_sub_f32_e32 v12, v16, v12
	v_sub_f32_e32 v12, v17, v12
	v_add_f32_e32 v17, v21, v22
	v_sub_f32_e32 v18, v17, v21
	v_add_f32_e32 v19, v15, v17
	v_sub_f32_e32 v18, v22, v18
	v_sub_f32_e32 v15, v19, v15
	v_sub_f32_e32 v15, v17, v15
	v_add_f32_e32 v11, v11, v18
	v_add_f32_e32 v11, v11, v15
	;; [unrolled: 1-line block ×3, first 2 shown]
	v_sub_f32_e32 v17, v15, v19
	v_sub_f32_e32 v11, v11, v17
	v_add_f32_e32 v17, v16, v15
	v_sub_f32_e32 v18, v17, v16
	v_sub_f32_e32 v19, v17, v18
	v_sub_f32_e32 v16, v16, v19
	v_sub_f32_e32 v15, v15, v18
	v_add_f32_e32 v15, v15, v16
	v_add_f32_e32 v16, v12, v11
	v_sub_f32_e32 v18, v16, v12
	v_sub_f32_e32 v19, v16, v18
	v_sub_f32_e32 v12, v12, v19
	v_sub_f32_e32 v11, v11, v18
	v_add_f32_e32 v11, v11, v12
	v_add_f32_e32 v12, v16, v15
	;; [unrolled: 1-line block ×3, first 2 shown]
	v_sub_f32_e32 v16, v15, v17
	v_sub_f32_e32 v12, v12, v16
	v_add_f32_e32 v11, v11, v12
	v_add_f32_e32 v12, v15, v11
	v_sub_f32_e32 v15, v12, v15
	v_sub_f32_e32 v11, v11, v15
	v_mul_f32_e32 v15, v13, v12
	v_fma_f32 v12, v13, v12, -v15
	v_fmac_f32_e32 v12, v13, v11
	v_add_f32_e32 v11, v15, v12
	v_cmp_class_f32_e64 vcc, v15, s20
	v_sub_f32_e32 v16, v11, v15
	v_cndmask_b32_e32 v11, v11, v15, vcc
	v_cmp_eq_f32_e32 vcc, s22, v11
	v_cndmask_b32_e32 v15, 0, v8, vcc
	v_sub_f32_e32 v12, v12, v16
	v_sub_f32_e32 v16, v11, v15
	v_mul_f32_e32 v17, 0x3fb8aa3b, v16
	v_fma_f32 v18, v16, s23, -v17
	v_rndne_f32_e32 v19, v17
	v_fmac_f32_e32 v18, 0x32a5705f, v16
	v_sub_f32_e32 v17, v17, v19
	v_add_f32_e32 v17, v17, v18
	v_exp_f32_e32 v17, v17
	v_cvt_i32_f32_e32 v18, v19
	v_cmp_neq_f32_e64 vcc, |v11|, s21
	v_cndmask_b32_e32 v11, 0, v12, vcc
	v_cmp_ngt_f32_e32 vcc, s24, v16
	v_ldexp_f32 v12, v17, v18
	v_cndmask_b32_e32 v12, 0, v12, vcc
	v_cmp_nlt_f32_e32 vcc, s22, v16
	v_add_f32_e32 v11, v15, v11
	v_cndmask_b32_e32 v12, v9, v12, vcc
	v_fma_f32 v11, v12, v11, v12
	v_cmp_class_f32_e64 vcc, v12, s20
	v_cndmask_b32_e32 v11, v11, v12, vcc
	v_trunc_f32_e32 v12, v13
	v_cmp_eq_f32_e32 vcc, v12, v13
	v_mul_f32_e32 v12, 0.5, v13
	v_trunc_f32_e32 v15, v12
	v_cmp_neq_f32_e64 s[0:1], v15, v12
	s_and_b64 s[0:1], vcc, s[0:1]
	v_cndmask_b32_e64 v12, 1.0, v14, s[0:1]
	v_bfi_b32 v11, s25, v11, v12
	v_cndmask_b32_e32 v12, v10, v11, vcc
	v_cmp_gt_f32_e32 vcc, 0, v14
	v_cndmask_b32_e32 v11, v11, v12, vcc
	v_cndmask_b32_e64 v12, v9, 0, s[2:3]
	v_cmp_neq_f32_e64 vcc, |v14|, 1.0
	v_cndmask_b32_e32 v12, 1.0, v12, vcc
	v_cmp_class_f32_e64 vcc, v13, s20
	v_cndmask_b32_e32 v11, v11, v12, vcc
	v_cmp_eq_f32_e32 vcc, 0, v14
	v_cmp_gt_f32_e64 s[2:3], 0, v13
	s_xor_b64 s[2:3], s[2:3], vcc
	v_cndmask_b32_e64 v12, v9, 0, s[2:3]
	v_cndmask_b32_e64 v15, 0, v14, s[0:1]
	v_bfi_b32 v12, s25, v12, v15
	s_or_b64 vcc, vcc, s[26:27]
	v_cndmask_b32_e32 v11, v11, v12, vcc
	v_cmp_o_f32_e32 vcc, v14, v13
	v_cndmask_b32_e32 v11, v10, v11, vcc
	global_store_dword v[4:5], v11, off
	v_mov_b32_e32 v11, s5
	v_add_co_u32_e32 v0, vcc, s4, v0
	v_addc_co_u32_e32 v1, vcc, v1, v11, vcc
	v_subrev_co_u32_e32 v2, vcc, s4, v2
	v_subb_co_u32_e32 v3, vcc, v3, v11, vcc
	v_cmp_le_i32_e32 vcc, s18, v0
	v_mov_b32_e32 v11, s15
	s_or_b64 s[16:17], vcc, s[16:17]
	v_add_co_u32_e32 v4, vcc, s14, v4
	v_addc_co_u32_e32 v5, vcc, v5, v11, vcc
	s_andn2_b64 exec, exec, s[16:17]
	s_cbranch_execz .LBB34_7
.LBB34_3:                               ; =>This Inner Loop Header: Depth=1
	v_cmp_le_i64_e32 vcc, s[12:13], v[0:1]
                                        ; implicit-def: $vgpr11
	s_and_saveexec_b64 s[0:1], vcc
	s_xor_b64 s[0:1], exec, s[0:1]
	s_cbranch_execz .LBB34_5
; %bb.4:                                ;   in Loop: Header=BB34_3 Depth=1
	v_xor_b32_e32 v12, v2, v3
	v_ffbh_i32_e32 v11, v3
	v_ashrrev_i32_e32 v12, 31, v12
	v_add_u32_e32 v11, -1, v11
	v_add_u32_e32 v12, 32, v12
	v_min_u32_e32 v13, v11, v12
	v_lshlrev_b64 v[11:12], v13, v[2:3]
	v_min_u32_e32 v11, 1, v11
	v_or_b32_e32 v11, v12, v11
	v_cvt_f32_i32_e32 v11, v11
	v_sub_u32_e32 v12, 32, v13
	v_ldexp_f32 v11, v11, v12
	v_mov_b32_e32 v12, s9
	v_fma_f32 v11, -s11, v11, v12
.LBB34_5:                               ;   in Loop: Header=BB34_3 Depth=1
	s_andn2_saveexec_b64 s[0:1], s[0:1]
	s_cbranch_execz .LBB34_2
; %bb.6:                                ;   in Loop: Header=BB34_3 Depth=1
	v_cvt_f32_i32_e32 v11, v0
	v_mov_b32_e32 v12, s8
	v_fma_f32 v11, s11, v11, v12
	s_branch .LBB34_2
.LBB34_7:
	s_endpgm
	.section	.rodata,"a",@progbits
	.p2align	6, 0x0
	.amdhsa_kernel _ZN12_GLOBAL__N_141elementwise_kernel_with_index_grid_strideIiZZZN2at6native17logspace_cuda_outERKN3c106ScalarES6_ldRNS1_6TensorEENKUlvE0_clEvENKUlvE0_clEvEUllE_EEvT_T0_PN15function_traitsISD_E11result_typeE
		.amdhsa_group_segment_fixed_size 0
		.amdhsa_private_segment_fixed_size 0
		.amdhsa_kernarg_size 312
		.amdhsa_user_sgpr_count 6
		.amdhsa_user_sgpr_private_segment_buffer 1
		.amdhsa_user_sgpr_dispatch_ptr 0
		.amdhsa_user_sgpr_queue_ptr 0
		.amdhsa_user_sgpr_kernarg_segment_ptr 1
		.amdhsa_user_sgpr_dispatch_id 0
		.amdhsa_user_sgpr_flat_scratch_init 0
		.amdhsa_user_sgpr_private_segment_size 0
		.amdhsa_uses_dynamic_stack 0
		.amdhsa_system_sgpr_private_segment_wavefront_offset 0
		.amdhsa_system_sgpr_workgroup_id_x 1
		.amdhsa_system_sgpr_workgroup_id_y 0
		.amdhsa_system_sgpr_workgroup_id_z 0
		.amdhsa_system_sgpr_workgroup_info 0
		.amdhsa_system_vgpr_workitem_id 0
		.amdhsa_next_free_vgpr 23
		.amdhsa_next_free_sgpr 28
		.amdhsa_reserve_vcc 1
		.amdhsa_reserve_flat_scratch 0
		.amdhsa_float_round_mode_32 0
		.amdhsa_float_round_mode_16_64 0
		.amdhsa_float_denorm_mode_32 3
		.amdhsa_float_denorm_mode_16_64 3
		.amdhsa_dx10_clamp 1
		.amdhsa_ieee_mode 1
		.amdhsa_fp16_overflow 0
		.amdhsa_exception_fp_ieee_invalid_op 0
		.amdhsa_exception_fp_denorm_src 0
		.amdhsa_exception_fp_ieee_div_zero 0
		.amdhsa_exception_fp_ieee_overflow 0
		.amdhsa_exception_fp_ieee_underflow 0
		.amdhsa_exception_fp_ieee_inexact 0
		.amdhsa_exception_int_div_zero 0
	.end_amdhsa_kernel
	.section	.text._ZN12_GLOBAL__N_141elementwise_kernel_with_index_grid_strideIiZZZN2at6native17logspace_cuda_outERKN3c106ScalarES6_ldRNS1_6TensorEENKUlvE0_clEvENKUlvE0_clEvEUllE_EEvT_T0_PN15function_traitsISD_E11result_typeE,"axG",@progbits,_ZN12_GLOBAL__N_141elementwise_kernel_with_index_grid_strideIiZZZN2at6native17logspace_cuda_outERKN3c106ScalarES6_ldRNS1_6TensorEENKUlvE0_clEvENKUlvE0_clEvEUllE_EEvT_T0_PN15function_traitsISD_E11result_typeE,comdat
.Lfunc_end34:
	.size	_ZN12_GLOBAL__N_141elementwise_kernel_with_index_grid_strideIiZZZN2at6native17logspace_cuda_outERKN3c106ScalarES6_ldRNS1_6TensorEENKUlvE0_clEvENKUlvE0_clEvEUllE_EEvT_T0_PN15function_traitsISD_E11result_typeE, .Lfunc_end34-_ZN12_GLOBAL__N_141elementwise_kernel_with_index_grid_strideIiZZZN2at6native17logspace_cuda_outERKN3c106ScalarES6_ldRNS1_6TensorEENKUlvE0_clEvENKUlvE0_clEvEUllE_EEvT_T0_PN15function_traitsISD_E11result_typeE
                                        ; -- End function
	.set _ZN12_GLOBAL__N_141elementwise_kernel_with_index_grid_strideIiZZZN2at6native17logspace_cuda_outERKN3c106ScalarES6_ldRNS1_6TensorEENKUlvE0_clEvENKUlvE0_clEvEUllE_EEvT_T0_PN15function_traitsISD_E11result_typeE.num_vgpr, 23
	.set _ZN12_GLOBAL__N_141elementwise_kernel_with_index_grid_strideIiZZZN2at6native17logspace_cuda_outERKN3c106ScalarES6_ldRNS1_6TensorEENKUlvE0_clEvENKUlvE0_clEvEUllE_EEvT_T0_PN15function_traitsISD_E11result_typeE.num_agpr, 0
	.set _ZN12_GLOBAL__N_141elementwise_kernel_with_index_grid_strideIiZZZN2at6native17logspace_cuda_outERKN3c106ScalarES6_ldRNS1_6TensorEENKUlvE0_clEvENKUlvE0_clEvEUllE_EEvT_T0_PN15function_traitsISD_E11result_typeE.numbered_sgpr, 28
	.set _ZN12_GLOBAL__N_141elementwise_kernel_with_index_grid_strideIiZZZN2at6native17logspace_cuda_outERKN3c106ScalarES6_ldRNS1_6TensorEENKUlvE0_clEvENKUlvE0_clEvEUllE_EEvT_T0_PN15function_traitsISD_E11result_typeE.num_named_barrier, 0
	.set _ZN12_GLOBAL__N_141elementwise_kernel_with_index_grid_strideIiZZZN2at6native17logspace_cuda_outERKN3c106ScalarES6_ldRNS1_6TensorEENKUlvE0_clEvENKUlvE0_clEvEUllE_EEvT_T0_PN15function_traitsISD_E11result_typeE.private_seg_size, 0
	.set _ZN12_GLOBAL__N_141elementwise_kernel_with_index_grid_strideIiZZZN2at6native17logspace_cuda_outERKN3c106ScalarES6_ldRNS1_6TensorEENKUlvE0_clEvENKUlvE0_clEvEUllE_EEvT_T0_PN15function_traitsISD_E11result_typeE.uses_vcc, 1
	.set _ZN12_GLOBAL__N_141elementwise_kernel_with_index_grid_strideIiZZZN2at6native17logspace_cuda_outERKN3c106ScalarES6_ldRNS1_6TensorEENKUlvE0_clEvENKUlvE0_clEvEUllE_EEvT_T0_PN15function_traitsISD_E11result_typeE.uses_flat_scratch, 0
	.set _ZN12_GLOBAL__N_141elementwise_kernel_with_index_grid_strideIiZZZN2at6native17logspace_cuda_outERKN3c106ScalarES6_ldRNS1_6TensorEENKUlvE0_clEvENKUlvE0_clEvEUllE_EEvT_T0_PN15function_traitsISD_E11result_typeE.has_dyn_sized_stack, 0
	.set _ZN12_GLOBAL__N_141elementwise_kernel_with_index_grid_strideIiZZZN2at6native17logspace_cuda_outERKN3c106ScalarES6_ldRNS1_6TensorEENKUlvE0_clEvENKUlvE0_clEvEUllE_EEvT_T0_PN15function_traitsISD_E11result_typeE.has_recursion, 0
	.set _ZN12_GLOBAL__N_141elementwise_kernel_with_index_grid_strideIiZZZN2at6native17logspace_cuda_outERKN3c106ScalarES6_ldRNS1_6TensorEENKUlvE0_clEvENKUlvE0_clEvEUllE_EEvT_T0_PN15function_traitsISD_E11result_typeE.has_indirect_call, 0
	.section	.AMDGPU.csdata,"",@progbits
; Kernel info:
; codeLenInByte = 1276
; TotalNumSgprs: 32
; NumVgprs: 23
; ScratchSize: 0
; MemoryBound: 0
; FloatMode: 240
; IeeeMode: 1
; LDSByteSize: 0 bytes/workgroup (compile time only)
; SGPRBlocks: 3
; VGPRBlocks: 5
; NumSGPRsForWavesPerEU: 32
; NumVGPRsForWavesPerEU: 23
; Occupancy: 10
; WaveLimiterHint : 0
; COMPUTE_PGM_RSRC2:SCRATCH_EN: 0
; COMPUTE_PGM_RSRC2:USER_SGPR: 6
; COMPUTE_PGM_RSRC2:TRAP_HANDLER: 0
; COMPUTE_PGM_RSRC2:TGID_X_EN: 1
; COMPUTE_PGM_RSRC2:TGID_Y_EN: 0
; COMPUTE_PGM_RSRC2:TGID_Z_EN: 0
; COMPUTE_PGM_RSRC2:TIDIG_COMP_CNT: 0
	.section	.text._ZN12_GLOBAL__N_141elementwise_kernel_with_index_grid_strideIlZZZN2at6native17logspace_cuda_outERKN3c106ScalarES6_ldRNS1_6TensorEENKUlvE0_clEvENKUlvE0_clEvEUllE_EEvT_T0_PN15function_traitsISD_E11result_typeE,"axG",@progbits,_ZN12_GLOBAL__N_141elementwise_kernel_with_index_grid_strideIlZZZN2at6native17logspace_cuda_outERKN3c106ScalarES6_ldRNS1_6TensorEENKUlvE0_clEvENKUlvE0_clEvEUllE_EEvT_T0_PN15function_traitsISD_E11result_typeE,comdat
	.globl	_ZN12_GLOBAL__N_141elementwise_kernel_with_index_grid_strideIlZZZN2at6native17logspace_cuda_outERKN3c106ScalarES6_ldRNS1_6TensorEENKUlvE0_clEvENKUlvE0_clEvEUllE_EEvT_T0_PN15function_traitsISD_E11result_typeE ; -- Begin function _ZN12_GLOBAL__N_141elementwise_kernel_with_index_grid_strideIlZZZN2at6native17logspace_cuda_outERKN3c106ScalarES6_ldRNS1_6TensorEENKUlvE0_clEvENKUlvE0_clEvEUllE_EEvT_T0_PN15function_traitsISD_E11result_typeE
	.p2align	8
	.type	_ZN12_GLOBAL__N_141elementwise_kernel_with_index_grid_strideIlZZZN2at6native17logspace_cuda_outERKN3c106ScalarES6_ldRNS1_6TensorEENKUlvE0_clEvENKUlvE0_clEvEUllE_EEvT_T0_PN15function_traitsISD_E11result_typeE,@function
_ZN12_GLOBAL__N_141elementwise_kernel_with_index_grid_strideIlZZZN2at6native17logspace_cuda_outERKN3c106ScalarES6_ldRNS1_6TensorEENKUlvE0_clEvENKUlvE0_clEvEUllE_EEvT_T0_PN15function_traitsISD_E11result_typeE: ; @_ZN12_GLOBAL__N_141elementwise_kernel_with_index_grid_strideIlZZZN2at6native17logspace_cuda_outERKN3c106ScalarES6_ldRNS1_6TensorEENKUlvE0_clEvENKUlvE0_clEvEUllE_EEvT_T0_PN15function_traitsISD_E11result_typeE
; %bb.0:
	s_load_dword s2, s[4:5], 0x44
	s_load_dwordx2 s[16:17], s[4:5], 0x0
	s_add_u32 s0, s4, 56
	s_addc_u32 s1, s5, 0
	v_mov_b32_e32 v1, 0
	s_waitcnt lgkmcnt(0)
	s_and_b32 s2, s2, 0xffff
	v_mov_b32_e32 v2, s6
	v_mad_u64_u32 v[0:1], s[6:7], s2, v2, v[0:1]
	v_cmp_gt_i64_e32 vcc, s[16:17], v[0:1]
	s_and_saveexec_b64 s[6:7], vcc
	s_cbranch_execz .LBB35_7
; %bb.1:
	s_load_dword s3, s[0:1], 0x0
	s_load_dwordx4 s[8:11], s[4:5], 0x8
	s_load_dwordx2 s[18:19], s[4:5], 0x18
	s_waitcnt lgkmcnt(0)
	s_load_dword s11, s[4:5], 0x20
	s_load_dwordx4 s[12:15], s[4:5], 0x28
	v_not_b32_e32 v2, v0
	v_not_b32_e32 v3, v1
                                        ; kill: killed $sgpr4 killed $sgpr5
	s_mul_hi_u32 s5, s2, s3
	v_mov_b32_e32 v4, s19
	v_add_co_u32_e32 v2, vcc, s18, v2
	v_addc_co_u32_e32 v3, vcc, v3, v4, vcc
	v_lshlrev_b64 v[4:5], 2, v[0:1]
	s_mul_i32 s4, s2, s3
	s_waitcnt lgkmcnt(0)
	v_mov_b32_e32 v6, s15
	v_add_co_u32_e32 v4, vcc, s14, v4
	v_cmp_eq_f32_e64 s[6:7], s10, 1.0
	v_addc_co_u32_e32 v5, vcc, v6, v5, vcc
	s_lshl_b64 s[14:15], s[4:5], 2
	s_mov_b64 s[18:19], 0
	v_mov_b32_e32 v6, s10
	s_mov_b32 s10, 0x3f2aaaab
	v_mov_b32_e32 v7, 0x3ecccdef
	s_mov_b32 s20, 0x3f317218
	s_movk_i32 s21, 0x204
	s_mov_b32 s22, 0x7f800000
	s_mov_b32 s23, 0x42b17218
	s_mov_b32 s24, 0x3fb8aa3b
	s_mov_b32 s25, 0xc2ce8ed0
	s_brev_b32 s26, -2
	v_mov_b32_e32 v8, 0x37000000
	v_mov_b32_e32 v9, 0x7f800000
	;; [unrolled: 1-line block ×3, first 2 shown]
                                        ; kill: killed $sgpr0 killed $sgpr1
	s_branch .LBB35_3
.LBB35_2:                               ;   in Loop: Header=BB35_3 Depth=1
	s_or_b64 exec, exec, s[0:1]
	v_cndmask_b32_e64 v13, v11, 1.0, s[6:7]
	v_cmp_neq_f32_e32 vcc, 0, v13
	v_cndmask_b32_e32 v14, 1.0, v6, vcc
	v_frexp_mant_f32_e64 v11, |v14|
	v_cmp_gt_f32_e32 vcc, s10, v11
	v_cndmask_b32_e64 v12, 1.0, 2.0, vcc
	v_mul_f32_e32 v11, v11, v12
	v_add_f32_e32 v12, 1.0, v11
	v_rcp_f32_e32 v15, v12
	v_add_f32_e32 v16, -1.0, v11
	v_add_f32_e32 v17, -1.0, v12
	v_sub_f32_e32 v11, v11, v17
	v_mul_f32_e32 v17, v16, v15
	v_mul_f32_e32 v18, v12, v17
	v_fma_f32 v12, v17, v12, -v18
	v_fmac_f32_e32 v12, v17, v11
	v_add_f32_e32 v11, v18, v12
	v_sub_f32_e32 v19, v16, v11
	v_sub_f32_e32 v18, v11, v18
	;; [unrolled: 1-line block ×5, first 2 shown]
	v_add_f32_e32 v11, v12, v11
	v_add_f32_e32 v11, v19, v11
	v_mul_f32_e32 v11, v15, v11
	v_add_f32_e32 v15, v17, v11
	v_sub_f32_e32 v12, v15, v17
	v_sub_f32_e32 v16, v11, v12
	v_mul_f32_e32 v11, v15, v15
	v_fma_f32 v12, v15, v15, -v11
	v_add_f32_e32 v17, v16, v16
	v_fmac_f32_e32 v12, v15, v17
	v_add_f32_e32 v17, v11, v12
	v_mov_b32_e32 v18, 0x3e91f4c4
	v_fmac_f32_e32 v18, 0x3e76c4e1, v17
	v_fma_f32 v18, v17, v18, v7
	v_sub_f32_e32 v11, v17, v11
	v_mul_f32_e32 v19, v15, v17
	v_sub_f32_e32 v11, v12, v11
	v_fma_f32 v20, v17, v15, -v19
	v_mul_f32_e32 v12, v17, v18
	v_fmac_f32_e32 v20, v17, v16
	v_fma_f32 v17, v17, v18, -v12
	v_fmac_f32_e32 v17, v11, v18
	v_fmac_f32_e32 v20, v11, v15
	v_add_f32_e32 v11, v12, v17
	v_sub_f32_e32 v12, v11, v12
	v_sub_f32_e32 v12, v17, v12
	v_add_f32_e32 v17, 0x3f2aaaaa, v11
	v_add_f32_e32 v18, 0xbf2aaaaa, v17
	v_sub_f32_e32 v11, v11, v18
	v_add_f32_e32 v12, 0x31739010, v12
	v_add_f32_e32 v11, v12, v11
	;; [unrolled: 1-line block ×3, first 2 shown]
	v_sub_f32_e32 v12, v17, v18
	v_add_f32_e32 v17, v11, v12
	v_cvt_f64_f32_e64 v[11:12], |v14|
	v_ldexp_f32 v15, v15, 1
	v_cmp_neq_f32_e64 s[2:3], v13, |v13|
	v_cmp_lt_f32_e64 s[28:29], |v14|, 1.0
	v_frexp_exp_i32_f64_e32 v11, v[11:12]
	v_add_f32_e32 v12, v19, v20
	v_mul_f32_e32 v21, v12, v18
	v_fma_f32 v22, v12, v18, -v21
	v_fmac_f32_e32 v22, v12, v17
	v_sub_f32_e32 v12, v12, v19
	v_sub_f32_e32 v12, v20, v12
	v_fmac_f32_e32 v22, v12, v18
	v_subbrev_co_u32_e32 v11, vcc, 0, v11, vcc
	v_cvt_f32_i32_e32 v11, v11
	s_xor_b64 s[2:3], s[2:3], s[28:29]
	v_cmp_class_f32_e64 s[28:29], v14, s21
	v_mul_f32_e32 v12, 0x3f317218, v11
	v_fma_f32 v17, v11, s20, -v12
	v_fmac_f32_e32 v17, 0xb102e308, v11
	v_ldexp_f32 v11, v16, 1
	v_add_f32_e32 v16, v12, v17
	v_sub_f32_e32 v12, v16, v12
	v_sub_f32_e32 v12, v17, v12
	v_add_f32_e32 v17, v21, v22
	v_sub_f32_e32 v18, v17, v21
	v_add_f32_e32 v19, v15, v17
	v_sub_f32_e32 v18, v22, v18
	v_sub_f32_e32 v15, v19, v15
	;; [unrolled: 1-line block ×3, first 2 shown]
	v_add_f32_e32 v11, v11, v18
	v_add_f32_e32 v11, v11, v15
	;; [unrolled: 1-line block ×3, first 2 shown]
	v_sub_f32_e32 v17, v15, v19
	v_sub_f32_e32 v11, v11, v17
	v_add_f32_e32 v17, v16, v15
	v_sub_f32_e32 v18, v17, v16
	v_sub_f32_e32 v19, v17, v18
	;; [unrolled: 1-line block ×4, first 2 shown]
	v_add_f32_e32 v15, v15, v16
	v_add_f32_e32 v16, v12, v11
	v_sub_f32_e32 v18, v16, v12
	v_sub_f32_e32 v19, v16, v18
	;; [unrolled: 1-line block ×4, first 2 shown]
	v_add_f32_e32 v11, v11, v12
	v_add_f32_e32 v12, v16, v15
	;; [unrolled: 1-line block ×3, first 2 shown]
	v_sub_f32_e32 v16, v15, v17
	v_sub_f32_e32 v12, v12, v16
	v_add_f32_e32 v11, v11, v12
	v_add_f32_e32 v12, v15, v11
	v_sub_f32_e32 v15, v12, v15
	v_sub_f32_e32 v11, v11, v15
	v_mul_f32_e32 v15, v13, v12
	v_fma_f32 v12, v13, v12, -v15
	v_fmac_f32_e32 v12, v13, v11
	v_add_f32_e32 v11, v15, v12
	v_cmp_class_f32_e64 vcc, v15, s21
	v_sub_f32_e32 v16, v11, v15
	v_cndmask_b32_e32 v11, v11, v15, vcc
	v_cmp_eq_f32_e32 vcc, s23, v11
	v_cndmask_b32_e32 v15, 0, v8, vcc
	v_sub_f32_e32 v12, v12, v16
	v_sub_f32_e32 v16, v11, v15
	v_mul_f32_e32 v17, 0x3fb8aa3b, v16
	v_fma_f32 v18, v16, s24, -v17
	v_rndne_f32_e32 v19, v17
	v_fmac_f32_e32 v18, 0x32a5705f, v16
	v_sub_f32_e32 v17, v17, v19
	v_add_f32_e32 v17, v17, v18
	v_exp_f32_e32 v17, v17
	v_cvt_i32_f32_e32 v18, v19
	v_cmp_neq_f32_e64 vcc, |v11|, s22
	v_cndmask_b32_e32 v11, 0, v12, vcc
	v_cmp_ngt_f32_e32 vcc, s25, v16
	v_ldexp_f32 v12, v17, v18
	v_cndmask_b32_e32 v12, 0, v12, vcc
	v_cmp_nlt_f32_e32 vcc, s23, v16
	v_add_f32_e32 v11, v15, v11
	v_cndmask_b32_e32 v12, v9, v12, vcc
	v_fma_f32 v11, v12, v11, v12
	v_cmp_class_f32_e64 vcc, v12, s21
	v_cndmask_b32_e32 v11, v11, v12, vcc
	v_trunc_f32_e32 v12, v13
	v_cmp_eq_f32_e32 vcc, v12, v13
	v_mul_f32_e32 v12, 0.5, v13
	v_trunc_f32_e32 v15, v12
	v_cmp_neq_f32_e64 s[0:1], v15, v12
	s_and_b64 s[0:1], vcc, s[0:1]
	v_cndmask_b32_e64 v12, 1.0, v14, s[0:1]
	v_bfi_b32 v11, s26, v11, v12
	v_cndmask_b32_e32 v12, v10, v11, vcc
	v_cmp_gt_f32_e32 vcc, 0, v14
	v_cndmask_b32_e32 v11, v11, v12, vcc
	v_cndmask_b32_e64 v12, v9, 0, s[2:3]
	v_cmp_neq_f32_e64 vcc, |v14|, 1.0
	v_cndmask_b32_e32 v12, 1.0, v12, vcc
	v_cmp_class_f32_e64 vcc, v13, s21
	v_cndmask_b32_e32 v11, v11, v12, vcc
	v_cmp_eq_f32_e32 vcc, 0, v14
	v_cmp_gt_f32_e64 s[2:3], 0, v13
	s_xor_b64 s[2:3], s[2:3], vcc
	v_cndmask_b32_e64 v12, v9, 0, s[2:3]
	v_cndmask_b32_e64 v15, 0, v14, s[0:1]
	v_bfi_b32 v12, s26, v12, v15
	s_or_b64 vcc, vcc, s[28:29]
	v_cndmask_b32_e32 v11, v11, v12, vcc
	v_cmp_o_f32_e32 vcc, v14, v13
	v_cndmask_b32_e32 v11, v10, v11, vcc
	global_store_dword v[4:5], v11, off
	v_mov_b32_e32 v11, s5
	v_add_co_u32_e32 v0, vcc, s4, v0
	v_addc_co_u32_e32 v1, vcc, v1, v11, vcc
	v_subrev_co_u32_e32 v2, vcc, s4, v2
	v_subb_co_u32_e32 v3, vcc, v3, v11, vcc
	v_cmp_le_i64_e32 vcc, s[16:17], v[0:1]
	v_mov_b32_e32 v11, s15
	s_or_b64 s[18:19], vcc, s[18:19]
	v_add_co_u32_e32 v4, vcc, s14, v4
	v_addc_co_u32_e32 v5, vcc, v5, v11, vcc
	s_andn2_b64 exec, exec, s[18:19]
	s_cbranch_execz .LBB35_7
.LBB35_3:                               ; =>This Inner Loop Header: Depth=1
	v_cmp_le_i64_e32 vcc, s[12:13], v[0:1]
                                        ; implicit-def: $vgpr11
	s_and_saveexec_b64 s[0:1], vcc
	s_xor_b64 s[0:1], exec, s[0:1]
	s_cbranch_execz .LBB35_5
; %bb.4:                                ;   in Loop: Header=BB35_3 Depth=1
	v_xor_b32_e32 v12, v2, v3
	v_ffbh_i32_e32 v11, v3
	v_ashrrev_i32_e32 v12, 31, v12
	v_add_u32_e32 v11, -1, v11
	v_add_u32_e32 v12, 32, v12
	v_min_u32_e32 v13, v11, v12
	v_lshlrev_b64 v[11:12], v13, v[2:3]
	v_min_u32_e32 v11, 1, v11
	v_or_b32_e32 v11, v12, v11
	v_cvt_f32_i32_e32 v11, v11
	v_sub_u32_e32 v12, 32, v13
	v_ldexp_f32 v11, v11, v12
	v_mov_b32_e32 v12, s9
	v_fma_f32 v11, -s11, v11, v12
.LBB35_5:                               ;   in Loop: Header=BB35_3 Depth=1
	s_andn2_saveexec_b64 s[0:1], s[0:1]
	s_cbranch_execz .LBB35_2
; %bb.6:                                ;   in Loop: Header=BB35_3 Depth=1
	v_ffbh_u32_e32 v11, v1
	v_min_u32_e32 v13, 32, v11
	v_lshlrev_b64 v[11:12], v13, v[0:1]
	v_min_u32_e32 v11, 1, v11
	v_or_b32_e32 v11, v12, v11
	v_cvt_f32_u32_e32 v11, v11
	v_sub_u32_e32 v12, 32, v13
	v_ldexp_f32 v11, v11, v12
	v_mov_b32_e32 v12, s8
	v_fma_f32 v11, s11, v11, v12
	s_branch .LBB35_2
.LBB35_7:
	s_endpgm
	.section	.rodata,"a",@progbits
	.p2align	6, 0x0
	.amdhsa_kernel _ZN12_GLOBAL__N_141elementwise_kernel_with_index_grid_strideIlZZZN2at6native17logspace_cuda_outERKN3c106ScalarES6_ldRNS1_6TensorEENKUlvE0_clEvENKUlvE0_clEvEUllE_EEvT_T0_PN15function_traitsISD_E11result_typeE
		.amdhsa_group_segment_fixed_size 0
		.amdhsa_private_segment_fixed_size 0
		.amdhsa_kernarg_size 312
		.amdhsa_user_sgpr_count 6
		.amdhsa_user_sgpr_private_segment_buffer 1
		.amdhsa_user_sgpr_dispatch_ptr 0
		.amdhsa_user_sgpr_queue_ptr 0
		.amdhsa_user_sgpr_kernarg_segment_ptr 1
		.amdhsa_user_sgpr_dispatch_id 0
		.amdhsa_user_sgpr_flat_scratch_init 0
		.amdhsa_user_sgpr_private_segment_size 0
		.amdhsa_uses_dynamic_stack 0
		.amdhsa_system_sgpr_private_segment_wavefront_offset 0
		.amdhsa_system_sgpr_workgroup_id_x 1
		.amdhsa_system_sgpr_workgroup_id_y 0
		.amdhsa_system_sgpr_workgroup_id_z 0
		.amdhsa_system_sgpr_workgroup_info 0
		.amdhsa_system_vgpr_workitem_id 0
		.amdhsa_next_free_vgpr 23
		.amdhsa_next_free_sgpr 30
		.amdhsa_reserve_vcc 1
		.amdhsa_reserve_flat_scratch 0
		.amdhsa_float_round_mode_32 0
		.amdhsa_float_round_mode_16_64 0
		.amdhsa_float_denorm_mode_32 3
		.amdhsa_float_denorm_mode_16_64 3
		.amdhsa_dx10_clamp 1
		.amdhsa_ieee_mode 1
		.amdhsa_fp16_overflow 0
		.amdhsa_exception_fp_ieee_invalid_op 0
		.amdhsa_exception_fp_denorm_src 0
		.amdhsa_exception_fp_ieee_div_zero 0
		.amdhsa_exception_fp_ieee_overflow 0
		.amdhsa_exception_fp_ieee_underflow 0
		.amdhsa_exception_fp_ieee_inexact 0
		.amdhsa_exception_int_div_zero 0
	.end_amdhsa_kernel
	.section	.text._ZN12_GLOBAL__N_141elementwise_kernel_with_index_grid_strideIlZZZN2at6native17logspace_cuda_outERKN3c106ScalarES6_ldRNS1_6TensorEENKUlvE0_clEvENKUlvE0_clEvEUllE_EEvT_T0_PN15function_traitsISD_E11result_typeE,"axG",@progbits,_ZN12_GLOBAL__N_141elementwise_kernel_with_index_grid_strideIlZZZN2at6native17logspace_cuda_outERKN3c106ScalarES6_ldRNS1_6TensorEENKUlvE0_clEvENKUlvE0_clEvEUllE_EEvT_T0_PN15function_traitsISD_E11result_typeE,comdat
.Lfunc_end35:
	.size	_ZN12_GLOBAL__N_141elementwise_kernel_with_index_grid_strideIlZZZN2at6native17logspace_cuda_outERKN3c106ScalarES6_ldRNS1_6TensorEENKUlvE0_clEvENKUlvE0_clEvEUllE_EEvT_T0_PN15function_traitsISD_E11result_typeE, .Lfunc_end35-_ZN12_GLOBAL__N_141elementwise_kernel_with_index_grid_strideIlZZZN2at6native17logspace_cuda_outERKN3c106ScalarES6_ldRNS1_6TensorEENKUlvE0_clEvENKUlvE0_clEvEUllE_EEvT_T0_PN15function_traitsISD_E11result_typeE
                                        ; -- End function
	.set _ZN12_GLOBAL__N_141elementwise_kernel_with_index_grid_strideIlZZZN2at6native17logspace_cuda_outERKN3c106ScalarES6_ldRNS1_6TensorEENKUlvE0_clEvENKUlvE0_clEvEUllE_EEvT_T0_PN15function_traitsISD_E11result_typeE.num_vgpr, 23
	.set _ZN12_GLOBAL__N_141elementwise_kernel_with_index_grid_strideIlZZZN2at6native17logspace_cuda_outERKN3c106ScalarES6_ldRNS1_6TensorEENKUlvE0_clEvENKUlvE0_clEvEUllE_EEvT_T0_PN15function_traitsISD_E11result_typeE.num_agpr, 0
	.set _ZN12_GLOBAL__N_141elementwise_kernel_with_index_grid_strideIlZZZN2at6native17logspace_cuda_outERKN3c106ScalarES6_ldRNS1_6TensorEENKUlvE0_clEvENKUlvE0_clEvEUllE_EEvT_T0_PN15function_traitsISD_E11result_typeE.numbered_sgpr, 30
	.set _ZN12_GLOBAL__N_141elementwise_kernel_with_index_grid_strideIlZZZN2at6native17logspace_cuda_outERKN3c106ScalarES6_ldRNS1_6TensorEENKUlvE0_clEvENKUlvE0_clEvEUllE_EEvT_T0_PN15function_traitsISD_E11result_typeE.num_named_barrier, 0
	.set _ZN12_GLOBAL__N_141elementwise_kernel_with_index_grid_strideIlZZZN2at6native17logspace_cuda_outERKN3c106ScalarES6_ldRNS1_6TensorEENKUlvE0_clEvENKUlvE0_clEvEUllE_EEvT_T0_PN15function_traitsISD_E11result_typeE.private_seg_size, 0
	.set _ZN12_GLOBAL__N_141elementwise_kernel_with_index_grid_strideIlZZZN2at6native17logspace_cuda_outERKN3c106ScalarES6_ldRNS1_6TensorEENKUlvE0_clEvENKUlvE0_clEvEUllE_EEvT_T0_PN15function_traitsISD_E11result_typeE.uses_vcc, 1
	.set _ZN12_GLOBAL__N_141elementwise_kernel_with_index_grid_strideIlZZZN2at6native17logspace_cuda_outERKN3c106ScalarES6_ldRNS1_6TensorEENKUlvE0_clEvENKUlvE0_clEvEUllE_EEvT_T0_PN15function_traitsISD_E11result_typeE.uses_flat_scratch, 0
	.set _ZN12_GLOBAL__N_141elementwise_kernel_with_index_grid_strideIlZZZN2at6native17logspace_cuda_outERKN3c106ScalarES6_ldRNS1_6TensorEENKUlvE0_clEvENKUlvE0_clEvEUllE_EEvT_T0_PN15function_traitsISD_E11result_typeE.has_dyn_sized_stack, 0
	.set _ZN12_GLOBAL__N_141elementwise_kernel_with_index_grid_strideIlZZZN2at6native17logspace_cuda_outERKN3c106ScalarES6_ldRNS1_6TensorEENKUlvE0_clEvENKUlvE0_clEvEUllE_EEvT_T0_PN15function_traitsISD_E11result_typeE.has_recursion, 0
	.set _ZN12_GLOBAL__N_141elementwise_kernel_with_index_grid_strideIlZZZN2at6native17logspace_cuda_outERKN3c106ScalarES6_ldRNS1_6TensorEENKUlvE0_clEvENKUlvE0_clEvEUllE_EEvT_T0_PN15function_traitsISD_E11result_typeE.has_indirect_call, 0
	.section	.AMDGPU.csdata,"",@progbits
; Kernel info:
; codeLenInByte = 1316
; TotalNumSgprs: 34
; NumVgprs: 23
; ScratchSize: 0
; MemoryBound: 0
; FloatMode: 240
; IeeeMode: 1
; LDSByteSize: 0 bytes/workgroup (compile time only)
; SGPRBlocks: 4
; VGPRBlocks: 5
; NumSGPRsForWavesPerEU: 34
; NumVGPRsForWavesPerEU: 23
; Occupancy: 10
; WaveLimiterHint : 0
; COMPUTE_PGM_RSRC2:SCRATCH_EN: 0
; COMPUTE_PGM_RSRC2:USER_SGPR: 6
; COMPUTE_PGM_RSRC2:TRAP_HANDLER: 0
; COMPUTE_PGM_RSRC2:TGID_X_EN: 1
; COMPUTE_PGM_RSRC2:TGID_Y_EN: 0
; COMPUTE_PGM_RSRC2:TGID_Z_EN: 0
; COMPUTE_PGM_RSRC2:TIDIG_COMP_CNT: 0
	.text
	.p2align	2                               ; -- Begin function _ZN16c10_complex_math3powIdEEN3c107complexIT_EERKS4_S6_
	.type	_ZN16c10_complex_math3powIdEEN3c107complexIT_EERKS4_S6_,@function
_ZN16c10_complex_math3powIdEEN3c107complexIT_EERKS4_S6_: ; @_ZN16c10_complex_math3powIdEEN3c107complexIT_EERKS4_S6_
; %bb.0:
	s_waitcnt vmcnt(0) expcnt(0) lgkmcnt(0)
	v_cmp_o_f64_e32 vcc, v[0:1], v[2:3]
                                        ; implicit-def: $vgpr8_vgpr9
                                        ; implicit-def: $vgpr12_vgpr13
	s_and_saveexec_b64 s[4:5], vcc
	s_xor_b64 s[12:13], exec, s[4:5]
	s_cbranch_execz .LBB36_28
; %bb.1:
	v_cmp_lt_f64_e64 s[4:5], |v[0:1]|, |v[2:3]|
	v_and_b32_e32 v14, 0x7fffffff, v1
	v_and_b32_e32 v15, 0x7fffffff, v3
	s_mov_b32 s6, 0x85ebc8a0
	s_mov_b32 s7, 0x7fd1ccf3
	v_mov_b32_e32 v16, v2
                                        ; implicit-def: $vgpr8_vgpr9
                                        ; implicit-def: $vgpr12_vgpr13
	v_cndmask_b32_e64 v11, v15, v14, s[4:5]
	v_cndmask_b32_e64 v10, v2, v0, s[4:5]
	v_cmp_nlt_f64_e32 vcc, s[6:7], v[10:11]
	s_and_saveexec_b64 s[6:7], vcc
	s_xor_b64 s[14:15], exec, s[6:7]
	s_cbranch_execz .LBB36_25
; %bb.2:
	v_cndmask_b32_e64 v17, v14, v15, s[4:5]
	v_cndmask_b32_e64 v16, v0, v16, s[4:5]
	v_cmp_neq_f64_e32 vcc, 1.0, v[16:17]
                                        ; implicit-def: $vgpr8_vgpr9
                                        ; implicit-def: $vgpr12_vgpr13
	s_and_saveexec_b64 s[6:7], vcc
	s_xor_b64 s[16:17], exec, s[6:7]
	s_cbranch_execz .LBB36_18
; %bb.3:
	v_max_f64 v[8:9], v[10:11], v[10:11]
	v_max_f64 v[12:13], v[16:17], v[16:17]
	s_mov_b32 s6, 0x4ad4b81f
	s_mov_b32 s8, 0xc57e649a
	;; [unrolled: 1-line block ×4, first 2 shown]
	v_min_f64 v[14:15], v[12:13], v[8:9]
	v_max_f64 v[8:9], v[12:13], v[8:9]
                                        ; implicit-def: $vgpr12_vgpr13
	v_cmp_ngt_f64_e32 vcc, s[6:7], v[14:15]
	v_cmp_nlt_f64_e64 s[6:7], s[8:9], v[8:9]
                                        ; implicit-def: $vgpr8_vgpr9
	s_and_b64 s[6:7], s[6:7], vcc
	s_and_saveexec_b64 s[8:9], s[6:7]
	s_xor_b64 s[18:19], exec, s[8:9]
	s_cbranch_execz .LBB36_15
; %bb.4:
	v_cmp_le_f64_e32 vcc, 1.0, v[16:17]
                                        ; implicit-def: $vgpr8_vgpr9
                                        ; implicit-def: $vgpr12_vgpr13
	s_and_saveexec_b64 s[6:7], vcc
	s_xor_b64 s[10:11], exec, s[6:7]
	s_cbranch_execz .LBB36_6
; %bb.5:
	v_add_f64 v[8:9], v[16:17], -1.0
	v_add_f64 v[12:13], v[16:17], 1.0
	s_mov_b32 s7, 0x3fe55555
	s_mov_b32 s6, 0x55555555
	;; [unrolled: 1-line block ×7, first 2 shown]
	v_mul_f64 v[8:9], v[8:9], v[12:13]
	v_fma_f64 v[9:10], v[10:11], v[10:11], v[8:9]
	v_add_f64 v[11:12], v[9:10], 1.0
	v_add_f64 v[13:14], v[11:12], -1.0
	v_frexp_exp_i32_f64_e32 v8, v[11:12]
	v_add_f64 v[15:16], v[13:14], -v[11:12]
	v_add_f64 v[13:14], v[9:10], -v[13:14]
	v_add_f64 v[15:16], v[15:16], 1.0
	v_add_f64 v[13:14], v[13:14], v[15:16]
	v_frexp_mant_f64_e32 v[15:16], v[11:12]
	v_cmp_gt_f64_e32 vcc, s[6:7], v[15:16]
	s_mov_b32 s6, 0x55555780
	v_subbrev_co_u32_e32 v8, vcc, 0, v8, vcc
	v_sub_u32_e32 v15, 0, v8
	v_ldexp_f64 v[11:12], v[11:12], v15
	v_ldexp_f64 v[13:14], v[13:14], v15
	v_add_f64 v[15:16], v[11:12], -1.0
	v_add_f64 v[17:18], v[15:16], 1.0
	v_add_f64 v[17:18], v[11:12], -v[17:18]
	v_add_f64 v[17:18], v[13:14], v[17:18]
	v_add_f64 v[19:20], v[15:16], v[17:18]
	v_add_f64 v[15:16], v[19:20], -v[15:16]
	v_add_f64 v[15:16], v[17:18], -v[15:16]
	v_add_f64 v[17:18], v[11:12], 1.0
	v_add_f64 v[21:22], v[17:18], -1.0
	v_add_f64 v[11:12], v[11:12], -v[21:22]
	v_add_f64 v[11:12], v[13:14], v[11:12]
	v_add_f64 v[13:14], v[17:18], v[11:12]
	v_add_f64 v[17:18], v[13:14], -v[17:18]
	v_add_f64 v[11:12], v[11:12], -v[17:18]
	v_rcp_f64_e32 v[17:18], v[13:14]
	v_fma_f64 v[21:22], -v[13:14], v[17:18], 1.0
	v_fma_f64 v[17:18], v[21:22], v[17:18], v[17:18]
	v_fma_f64 v[21:22], -v[13:14], v[17:18], 1.0
	v_fma_f64 v[17:18], v[21:22], v[17:18], v[17:18]
	v_mul_f64 v[21:22], v[19:20], v[17:18]
	v_mul_f64 v[23:24], v[13:14], v[21:22]
	v_fma_f64 v[25:26], v[21:22], v[13:14], -v[23:24]
	v_fma_f64 v[25:26], v[21:22], v[11:12], v[25:26]
	v_add_f64 v[27:28], v[23:24], v[25:26]
	v_add_f64 v[29:30], v[19:20], -v[27:28]
	v_add_f64 v[23:24], v[27:28], -v[23:24]
	;; [unrolled: 1-line block ×4, first 2 shown]
	v_add_f64 v[15:16], v[15:16], v[19:20]
	v_add_f64 v[19:20], v[23:24], -v[25:26]
	v_add_f64 v[15:16], v[19:20], v[15:16]
	v_add_f64 v[19:20], v[29:30], v[15:16]
	v_add_f64 v[23:24], v[29:30], -v[19:20]
	v_add_f64 v[15:16], v[15:16], v[23:24]
	v_mul_f64 v[23:24], v[17:18], v[19:20]
	v_mul_f64 v[25:26], v[13:14], v[23:24]
	v_fma_f64 v[13:14], v[23:24], v[13:14], -v[25:26]
	v_fma_f64 v[11:12], v[23:24], v[11:12], v[13:14]
	v_add_f64 v[13:14], v[25:26], v[11:12]
	v_add_f64 v[27:28], v[19:20], -v[13:14]
	v_add_f64 v[25:26], v[13:14], -v[25:26]
	;; [unrolled: 1-line block ×5, first 2 shown]
	v_cvt_f64_i32_e32 v[19:20], v8
	v_mov_b32_e32 v8, 0x7ff00000
	v_add_f64 v[13:14], v[15:16], v[13:14]
	v_add_f64 v[11:12], v[11:12], v[13:14]
	;; [unrolled: 1-line block ×4, first 2 shown]
	v_add_f64 v[15:16], v[13:14], -v[21:22]
	v_mul_f64 v[11:12], v[17:18], v[11:12]
	v_add_f64 v[15:16], v[23:24], -v[15:16]
	v_mov_b32_e32 v17, 0x6b47b09a
	v_mov_b32_e32 v18, 0x3fc38538
	v_add_f64 v[11:12], v[15:16], v[11:12]
	v_add_f64 v[15:16], v[13:14], v[11:12]
	v_add_f64 v[13:14], v[15:16], -v[13:14]
	v_add_f64 v[11:12], v[11:12], -v[13:14]
	v_mul_f64 v[13:14], v[15:16], v[15:16]
	v_ldexp_f64 v[11:12], v[11:12], 1
	v_fma_f64 v[17:18], v[13:14], s[8:9], v[17:18]
	s_mov_b32 s8, 0xd7f4df2e
	s_mov_b32 s9, 0x3fc7474d
	v_fma_f64 v[17:18], v[13:14], v[17:18], s[8:9]
	s_mov_b32 s8, 0x16291751
	s_mov_b32 s9, 0x3fcc71c0
	;; [unrolled: 3-line block ×4, first 2 shown]
	v_fma_f64 v[17:18], v[13:14], v[17:18], s[8:9]
	s_movk_i32 s8, 0x204
	v_fma_f64 v[17:18], v[13:14], v[17:18], s[6:7]
	s_mov_b32 s6, 0xfefa39ef
	s_mov_b32 s7, 0x3fe62e42
	v_mul_f64 v[21:22], v[19:20], s[6:7]
	v_mul_f64 v[13:14], v[15:16], v[13:14]
	v_fma_f64 v[23:24], v[19:20], s[6:7], -v[21:22]
	s_mov_b32 s6, 0x3b39803f
	s_mov_b32 s7, 0x3c7abc9e
	v_mul_f64 v[13:14], v[13:14], v[17:18]
	v_fma_f64 v[19:20], v[19:20], s[6:7], v[23:24]
	s_mov_b32 s6, 0
	s_mov_b32 s7, 0x7ff00000
	v_cmp_neq_f64_e32 vcc, s[6:7], v[9:10]
	v_cmp_ngt_f64_e64 s[6:7], -1.0, v[9:10]
	v_add_f64 v[23:24], v[21:22], v[19:20]
	v_add_f64 v[21:22], v[23:24], -v[21:22]
	v_add_f64 v[19:20], v[19:20], -v[21:22]
	v_ldexp_f64 v[21:22], v[15:16], 1
	v_add_f64 v[15:16], v[21:22], v[13:14]
	v_add_f64 v[17:18], v[15:16], -v[21:22]
	v_add_f64 v[13:14], v[13:14], -v[17:18]
	v_add_f64 v[11:12], v[11:12], v[13:14]
	v_add_f64 v[13:14], v[15:16], v[11:12]
	v_add_f64 v[15:16], v[13:14], -v[15:16]
	v_add_f64 v[11:12], v[11:12], -v[15:16]
	v_add_f64 v[15:16], v[23:24], v[13:14]
	v_add_f64 v[17:18], v[15:16], -v[23:24]
	v_add_f64 v[21:22], v[15:16], -v[17:18]
	;; [unrolled: 1-line block ×3, first 2 shown]
	v_add_f64 v[17:18], v[19:20], v[11:12]
	v_add_f64 v[21:22], v[23:24], -v[21:22]
	v_add_f64 v[13:14], v[13:14], v[21:22]
	v_add_f64 v[21:22], v[17:18], -v[19:20]
	;; [unrolled: 2-line block ×3, first 2 shown]
	v_add_f64 v[11:12], v[11:12], -v[21:22]
	v_add_f64 v[17:18], v[15:16], v[13:14]
	v_add_f64 v[19:20], v[19:20], -v[23:24]
	v_add_f64 v[15:16], v[17:18], -v[15:16]
	v_add_f64 v[11:12], v[11:12], v[19:20]
	v_add_f64 v[13:14], v[13:14], -v[15:16]
	v_add_f64 v[11:12], v[11:12], v[13:14]
	v_add_f64 v[11:12], v[17:18], v[11:12]
	v_mul_f64 v[11:12], v[11:12], 0.5
	v_cndmask_b32_e32 v8, v8, v12, vcc
	v_mov_b32_e32 v12, 0x7ff80000
	v_cndmask_b32_e64 v12, v12, v8, s[6:7]
	v_cmp_nge_f64_e64 s[6:7], -1.0, v[9:10]
	s_and_b64 vcc, s[6:7], vcc
	v_cndmask_b32_e32 v8, 0, v11, vcc
	v_cmp_neq_f64_e32 vcc, -1.0, v[9:10]
	v_mov_b32_e32 v9, 0xfff00000
	v_max_f64 v[10:11], |v[2:3]|, |v[2:3]|
	v_cndmask_b32_e32 v9, v9, v12, vcc
	v_max_f64 v[12:13], |v[0:1]|, |v[0:1]|
	v_max_f64 v[14:15], v[12:13], v[10:11]
	v_min_f64 v[10:11], v[12:13], v[10:11]
	v_div_scale_f64 v[12:13], s[6:7], v[14:15], v[14:15], v[10:11]
	s_mov_b32 s6, 0xb5e68a13
	s_mov_b32 s7, 0x3eeba404
	v_rcp_f64_e32 v[16:17], v[12:13]
	v_fma_f64 v[18:19], -v[12:13], v[16:17], 1.0
	v_fma_f64 v[16:17], v[16:17], v[18:19], v[16:17]
	v_fma_f64 v[18:19], -v[12:13], v[16:17], 1.0
	v_fma_f64 v[16:17], v[16:17], v[18:19], v[16:17]
	v_div_scale_f64 v[18:19], vcc, v[10:11], v[14:15], v[10:11]
	v_mul_f64 v[20:21], v[18:19], v[16:17]
	v_fma_f64 v[12:13], -v[12:13], v[20:21], v[18:19]
	s_nop 1
	v_div_fmas_f64 v[12:13], v[12:13], v[16:17], v[20:21]
                                        ; implicit-def: $vgpr16_vgpr17
	v_div_fixup_f64 v[10:11], v[12:13], v[14:15], v[10:11]
	v_mov_b32_e32 v14, 0xbd3237f4
	v_mov_b32_e32 v15, 0xbf23e260
	v_mul_f64 v[12:13], v[10:11], v[10:11]
	v_fma_f64 v[14:15], v[12:13], s[6:7], v[14:15]
	s_mov_b32 s6, 0x69efb384
	s_mov_b32 s7, 0x3f4b2bb0
	v_fma_f64 v[14:15], v[12:13], v[14:15], s[6:7]
	s_mov_b32 s6, 0xaf56de9b
	s_mov_b32 s7, 0xbf67952d
	;; [unrolled: 3-line block ×18, first 2 shown]
	v_fma_f64 v[14:15], v[12:13], v[14:15], s[6:7]
	v_cmp_class_f64_e64 s[6:7], v[2:3], s8
	v_cmp_class_f64_e64 s[8:9], v[0:1], s8
	v_mov_b32_e32 v0, 0x54442d18
	v_mul_f64 v[12:13], v[12:13], v[14:15]
	s_and_b64 vcc, s[8:9], s[6:7]
	v_cmp_gt_i32_e64 s[6:7], 0, v1
	s_brev_b32 s8, -2
	v_fma_f64 v[10:11], v[10:11], v[12:13], v[10:11]
	v_mov_b32_e32 v12, 0x7f3321d2
	v_cndmask_b32_e64 v12, v0, v12, s[6:7]
	v_mov_b32_e32 v0, 0x3fe921fb
	v_mov_b32_e32 v13, 0x4002d97c
	v_cndmask_b32_e64 v0, v0, v13, s[6:7]
	v_bfi_b32 v13, s8, v0, v3
	v_ashrrev_i32_e32 v0, 31, v1
	v_and_b32_e32 v14, 0x400921fb, v0
	v_and_b32_e32 v15, 0x54442d18, v0
	v_add_f64 v[0:1], -v[10:11], s[20:21]
	s_mov_b32 s21, s22
	v_cmp_eq_f64_e64 s[8:9], 0, v[2:3]
	v_cndmask_b32_e64 v1, v11, v1, s[4:5]
	v_cndmask_b32_e64 v0, v10, v0, s[4:5]
	v_add_f64 v[10:11], -v[0:1], s[20:21]
	v_cndmask_b32_e64 v1, v1, v11, s[6:7]
	v_cndmask_b32_e64 v0, v0, v10, s[6:7]
	;; [unrolled: 1-line block ×4, first 2 shown]
	v_cndmask_b32_e32 v13, v1, v13, vcc
	v_cndmask_b32_e32 v12, v0, v12, vcc
                                        ; implicit-def: $vgpr0_vgpr1
                                        ; implicit-def: $vgpr10_vgpr11
.LBB36_6:
	s_andn2_saveexec_b64 s[20:21], s[10:11]
	s_cbranch_execz .LBB36_14
; %bb.7:
	v_mul_f64 v[8:9], v[10:11], v[10:11]
	s_mov_b32 s6, 0x66666666
	s_mov_b32 s7, 0x3fe66666
                                        ; implicit-def: $vgpr12_vgpr13
	v_fma_f64 v[14:15], v[16:17], v[16:17], v[8:9]
                                        ; implicit-def: $vgpr8_vgpr9
	v_cmp_ge_f64_e32 vcc, s[6:7], v[14:15]
	s_and_saveexec_b64 s[6:7], vcc
	s_xor_b64 s[10:11], exec, s[6:7]
	s_cbranch_execz .LBB36_9
; %bb.8:
	v_frexp_mant_f64_e32 v[8:9], v[14:15]
	s_mov_b32 s7, 0x3fe55555
	s_mov_b32 s6, 0x55555555
	v_frexp_exp_i32_f64_e32 v10, v[14:15]
	s_mov_b32 s8, 0xbf559e2b
	s_mov_b32 s9, 0x3fc3ab76
	;; [unrolled: 1-line block ×4, first 2 shown]
	v_cmp_gt_f64_e32 vcc, s[6:7], v[8:9]
	s_mov_b32 s6, 0x55555780
	s_mov_b32 s24, 0x400921fb
	v_cndmask_b32_e64 v11, 0, 1, vcc
	v_ldexp_f64 v[8:9], v[8:9], v11
	v_subbrev_co_u32_e32 v24, vcc, 0, v10, vcc
	v_cmp_neq_f64_e32 vcc, 0, v[14:15]
	v_add_f64 v[12:13], v[8:9], 1.0
	v_add_f64 v[10:11], v[8:9], -1.0
	v_add_f64 v[16:17], v[12:13], -1.0
	v_add_f64 v[8:9], v[8:9], -v[16:17]
	v_rcp_f64_e32 v[16:17], v[12:13]
	v_fma_f64 v[18:19], -v[12:13], v[16:17], 1.0
	v_fma_f64 v[16:17], v[18:19], v[16:17], v[16:17]
	v_fma_f64 v[18:19], -v[12:13], v[16:17], 1.0
	v_fma_f64 v[16:17], v[18:19], v[16:17], v[16:17]
	v_mul_f64 v[18:19], v[10:11], v[16:17]
	v_mul_f64 v[20:21], v[12:13], v[18:19]
	v_fma_f64 v[12:13], v[18:19], v[12:13], -v[20:21]
	v_fma_f64 v[8:9], v[18:19], v[8:9], v[12:13]
	v_add_f64 v[12:13], v[20:21], v[8:9]
	v_add_f64 v[22:23], v[10:11], -v[12:13]
	v_add_f64 v[20:21], v[12:13], -v[20:21]
	;; [unrolled: 1-line block ×5, first 2 shown]
	v_add_f64 v[8:9], v[8:9], v[10:11]
	v_add_f64 v[8:9], v[22:23], v[8:9]
	v_mul_f64 v[8:9], v[16:17], v[8:9]
	v_mov_b32_e32 v16, 0x6b47b09a
	v_mov_b32_e32 v17, 0x3fc38538
	v_add_f64 v[10:11], v[18:19], v[8:9]
	v_add_f64 v[12:13], v[10:11], -v[18:19]
	v_ldexp_f64 v[18:19], v[10:11], 1
	v_add_f64 v[8:9], v[8:9], -v[12:13]
	v_mul_f64 v[12:13], v[10:11], v[10:11]
	v_ldexp_f64 v[8:9], v[8:9], 1
	v_fma_f64 v[16:17], v[12:13], s[8:9], v[16:17]
	s_mov_b32 s8, 0xd7f4df2e
	s_mov_b32 s9, 0x3fc7474d
	v_mul_f64 v[10:11], v[10:11], v[12:13]
	v_fma_f64 v[16:17], v[12:13], v[16:17], s[8:9]
	s_mov_b32 s8, 0x16291751
	s_mov_b32 s9, 0x3fcc71c0
	v_fma_f64 v[16:17], v[12:13], v[16:17], s[8:9]
	s_mov_b32 s8, 0x9b27acf1
	s_mov_b32 s9, 0x3fd24924
	;; [unrolled: 3-line block ×3, first 2 shown]
	v_fma_f64 v[16:17], v[12:13], v[16:17], s[8:9]
	s_movk_i32 s8, 0x204
	v_fma_f64 v[16:17], v[12:13], v[16:17], s[6:7]
	s_mov_b32 s6, 0xfefa39ef
	s_mov_b32 s7, 0x3fe62e42
	v_mul_f64 v[10:11], v[10:11], v[16:17]
	v_add_f64 v[12:13], v[18:19], v[10:11]
	v_add_f64 v[16:17], v[12:13], -v[18:19]
	v_add_f64 v[10:11], v[10:11], -v[16:17]
	v_add_f64 v[8:9], v[8:9], v[10:11]
	v_add_f64 v[10:11], v[12:13], v[8:9]
	v_add_f64 v[12:13], v[10:11], -v[12:13]
	v_add_f64 v[8:9], v[8:9], -v[12:13]
	v_cvt_f64_i32_e32 v[12:13], v24
	v_mul_f64 v[16:17], v[12:13], s[6:7]
	v_fma_f64 v[18:19], v[12:13], s[6:7], -v[16:17]
	s_mov_b32 s6, 0x3b39803f
	s_mov_b32 s7, 0x3c7abc9e
	v_fma_f64 v[12:13], v[12:13], s[6:7], v[18:19]
	v_add_f64 v[18:19], v[16:17], v[12:13]
	v_add_f64 v[16:17], v[18:19], -v[16:17]
	v_add_f64 v[12:13], v[12:13], -v[16:17]
	v_add_f64 v[16:17], v[18:19], v[10:11]
	v_add_f64 v[20:21], v[16:17], -v[18:19]
	v_add_f64 v[22:23], v[16:17], -v[20:21]
	;; [unrolled: 1-line block ×4, first 2 shown]
	v_add_f64 v[10:11], v[10:11], v[18:19]
	v_add_f64 v[18:19], v[12:13], v[8:9]
	v_add_f64 v[20:21], v[18:19], -v[12:13]
	v_add_f64 v[10:11], v[18:19], v[10:11]
	v_add_f64 v[22:23], v[18:19], -v[20:21]
	v_add_f64 v[8:9], v[8:9], -v[20:21]
	;; [unrolled: 1-line block ×3, first 2 shown]
	v_add_f64 v[8:9], v[8:9], v[12:13]
	v_add_f64 v[12:13], v[16:17], v[10:11]
	v_add_f64 v[16:17], v[12:13], -v[16:17]
	v_add_f64 v[10:11], v[10:11], -v[16:17]
	v_add_f64 v[8:9], v[8:9], v[10:11]
	v_mov_b32_e32 v10, 0xfff00000
	v_add_f64 v[8:9], v[12:13], v[8:9]
	v_max_f64 v[12:13], |v[0:1]|, |v[0:1]|
	v_mul_f64 v[8:9], v[8:9], 0.5
	v_cndmask_b32_e32 v9, v10, v9, vcc
	v_max_f64 v[10:11], |v[2:3]|, |v[2:3]|
	v_cndmask_b32_e32 v8, 0, v8, vcc
	v_max_f64 v[14:15], v[12:13], v[10:11]
	v_min_f64 v[10:11], v[12:13], v[10:11]
	v_div_scale_f64 v[12:13], s[6:7], v[14:15], v[14:15], v[10:11]
	s_mov_b32 s6, 0xb5e68a13
	s_mov_b32 s7, 0x3eeba404
	v_rcp_f64_e32 v[16:17], v[12:13]
	v_fma_f64 v[18:19], -v[12:13], v[16:17], 1.0
	v_fma_f64 v[16:17], v[16:17], v[18:19], v[16:17]
	v_fma_f64 v[18:19], -v[12:13], v[16:17], 1.0
	v_fma_f64 v[16:17], v[16:17], v[18:19], v[16:17]
	v_div_scale_f64 v[18:19], vcc, v[10:11], v[14:15], v[10:11]
	v_mul_f64 v[20:21], v[18:19], v[16:17]
	v_fma_f64 v[12:13], -v[12:13], v[20:21], v[18:19]
	s_nop 1
	v_div_fmas_f64 v[12:13], v[12:13], v[16:17], v[20:21]
                                        ; implicit-def: $vgpr16_vgpr17
	v_div_fixup_f64 v[10:11], v[12:13], v[14:15], v[10:11]
	v_mov_b32_e32 v14, 0xbd3237f4
	v_mov_b32_e32 v15, 0xbf23e260
	v_mul_f64 v[12:13], v[10:11], v[10:11]
	v_fma_f64 v[14:15], v[12:13], s[6:7], v[14:15]
	s_mov_b32 s6, 0x69efb384
	s_mov_b32 s7, 0x3f4b2bb0
	v_fma_f64 v[14:15], v[12:13], v[14:15], s[6:7]
	s_mov_b32 s6, 0xaf56de9b
	s_mov_b32 s7, 0xbf67952d
	v_fma_f64 v[14:15], v[12:13], v[14:15], s[6:7]
	s_mov_b32 s6, 0xa595c56f
	s_mov_b32 s7, 0x3f7d6d43
	v_fma_f64 v[14:15], v[12:13], v[14:15], s[6:7]
	s_mov_b32 s6, 0xa57d9582
	s_mov_b32 s7, 0xbf8c6ea4
	v_fma_f64 v[14:15], v[12:13], v[14:15], s[6:7]
	s_mov_b32 s6, 0x5f08b19f
	s_mov_b32 s7, 0x3f967e29
	v_fma_f64 v[14:15], v[12:13], v[14:15], s[6:7]
	s_mov_b32 s6, 0xfc27006a
	s_mov_b32 s7, 0xbf9e9ae6
	v_fma_f64 v[14:15], v[12:13], v[14:15], s[6:7]
	s_mov_b32 s6, 0x5711927a
	s_mov_b32 s7, 0x3fa2c15b
	v_fma_f64 v[14:15], v[12:13], v[14:15], s[6:7]
	s_mov_b32 s6, 0xe82d3ff0
	s_mov_b32 s7, 0xbfa59976
	v_fma_f64 v[14:15], v[12:13], v[14:15], s[6:7]
	s_mov_b32 s6, 0x6ef28734
	s_mov_b32 s7, 0x3fa82d5d
	v_fma_f64 v[14:15], v[12:13], v[14:15], s[6:7]
	s_mov_b32 s6, 0x6a214619
	s_mov_b32 s7, 0xbfaae5ce
	v_fma_f64 v[14:15], v[12:13], v[14:15], s[6:7]
	s_mov_b32 s6, 0x8427b883
	s_mov_b32 s7, 0x3fae1bb4
	v_fma_f64 v[14:15], v[12:13], v[14:15], s[6:7]
	s_mov_b32 s6, 0x8b207f05
	s_mov_b32 s7, 0xbfb110e4
	v_fma_f64 v[14:15], v[12:13], v[14:15], s[6:7]
	s_mov_b32 s6, 0x57b87036
	s_mov_b32 s7, 0x3fb3b136
	v_fma_f64 v[14:15], v[12:13], v[14:15], s[6:7]
	s_mov_b32 s6, 0x19378e4f
	s_mov_b32 s7, 0xbfb745d1
	v_fma_f64 v[14:15], v[12:13], v[14:15], s[6:7]
	s_mov_b32 s6, 0x17e1913c
	s_mov_b32 s7, 0x3fbc71c7
	v_fma_f64 v[14:15], v[12:13], v[14:15], s[6:7]
	s_mov_b32 s6, 0x92376b7d
	s_mov_b32 s7, 0xbfc24924
	v_fma_f64 v[14:15], v[12:13], v[14:15], s[6:7]
	s_mov_b32 s6, 0x999952cc
	s_mov_b32 s7, 0x3fc99999
	v_fma_f64 v[14:15], v[12:13], v[14:15], s[6:7]
	s_mov_b32 s6, 0x55555523
	s_mov_b32 s7, 0xbfd55555
	v_fma_f64 v[14:15], v[12:13], v[14:15], s[6:7]
	v_cmp_class_f64_e64 s[6:7], v[2:3], s8
	v_cmp_class_f64_e64 s[8:9], v[0:1], s8
	v_mov_b32_e32 v0, 0x54442d18
	v_mul_f64 v[12:13], v[12:13], v[14:15]
	s_and_b64 vcc, s[8:9], s[6:7]
	v_cmp_gt_i32_e64 s[6:7], 0, v1
	s_brev_b32 s8, -2
	v_fma_f64 v[10:11], v[10:11], v[12:13], v[10:11]
	v_mov_b32_e32 v12, 0x7f3321d2
	v_cndmask_b32_e64 v12, v0, v12, s[6:7]
	v_mov_b32_e32 v0, 0x3fe921fb
	v_mov_b32_e32 v13, 0x4002d97c
	v_cndmask_b32_e64 v0, v0, v13, s[6:7]
	v_bfi_b32 v13, s8, v0, v3
	v_ashrrev_i32_e32 v0, 31, v1
	v_and_b32_e32 v14, 0x400921fb, v0
	v_and_b32_e32 v15, 0x54442d18, v0
	v_add_f64 v[0:1], -v[10:11], s[22:23]
	s_mov_b32 s23, s24
	v_cmp_eq_f64_e64 s[8:9], 0, v[2:3]
	v_cndmask_b32_e64 v1, v11, v1, s[4:5]
	v_cndmask_b32_e64 v0, v10, v0, s[4:5]
	v_add_f64 v[10:11], -v[0:1], s[22:23]
	v_cndmask_b32_e64 v1, v1, v11, s[6:7]
	v_cndmask_b32_e64 v0, v0, v10, s[6:7]
	;; [unrolled: 1-line block ×4, first 2 shown]
	v_cndmask_b32_e32 v13, v1, v13, vcc
	v_cndmask_b32_e32 v12, v0, v12, vcc
                                        ; implicit-def: $vgpr0_vgpr1
                                        ; implicit-def: $vgpr10_vgpr11
.LBB36_9:
	s_andn2_saveexec_b64 s[22:23], s[10:11]
	s_cbranch_execz .LBB36_13
; %bb.10:
	v_mov_b32_e32 v8, 0
	v_and_b32_e32 v9, 0x7ffffff8, v17
	v_and_b32_e32 v15, 0x7ffffff8, v11
	v_mov_b32_e32 v14, v8
	v_add_f64 v[12:13], v[16:17], -v[8:9]
	v_add_f64 v[10:11], v[10:11], -v[14:15]
	v_mov_b32_e32 v16, v8
	v_mov_b32_e32 v18, v8
	v_add_f64 v[22:23], v[8:9], v[8:9]
	v_add_f64 v[24:25], v[14:15], v[14:15]
	v_mul_f64 v[8:9], v[8:9], v[8:9]
	s_mov_b64 s[24:25], 0
	v_and_b32_e32 v17, -8, v13
	v_and_b32_e32 v19, -8, v11
	v_add_f64 v[30:31], v[12:13], -v[16:17]
	v_add_f64 v[32:33], v[10:11], -v[18:19]
	v_add_f64 v[34:35], v[16:17], v[16:17]
	v_add_f64 v[36:37], v[18:19], v[18:19]
	v_mul_f64 v[10:11], v[14:15], v[14:15]
	v_mul_f64 v[14:15], v[22:23], v[16:17]
	;; [unrolled: 1-line block ×11, first 2 shown]
.LBB36_11:                              ; =>This Inner Loop Header: Depth=1
	v_cmp_nlt_f64_e32 vcc, v[8:9], v[10:11]
	v_cndmask_b32_e32 v33, v9, v11, vcc
	v_cndmask_b32_e32 v32, v8, v10, vcc
	v_cmp_nlt_f64_e64 s[6:7], v[32:33], v[14:15]
	v_cndmask_b32_e32 v9, v11, v9, vcc
	v_cndmask_b32_e32 v8, v10, v8, vcc
	v_cndmask_b32_e64 v35, v33, v15, s[6:7]
	v_cndmask_b32_e64 v34, v32, v14, s[6:7]
	v_cmp_nlt_f64_e64 s[8:9], v[34:35], v[12:13]
	v_cndmask_b32_e64 v11, v15, v33, s[6:7]
	v_cndmask_b32_e64 v10, v14, v32, s[6:7]
	s_and_b64 s[26:27], vcc, s[6:7]
	v_cndmask_b32_e64 v37, v35, v13, s[8:9]
	v_cndmask_b32_e64 v36, v34, v12, s[8:9]
	v_cmp_nlt_f64_e64 s[10:11], v[36:37], v[20:21]
	v_cndmask_b32_e64 v15, v13, v35, s[8:9]
	v_cndmask_b32_e64 v14, v12, v34, s[8:9]
	;; [unrolled: 1-line block ×4, first 2 shown]
	v_cmp_nlt_f64_e32 vcc, v[32:33], v[18:19]
	v_cndmask_b32_e64 v13, v21, v37, s[10:11]
	v_cndmask_b32_e64 v12, v20, v36, s[10:11]
	s_and_b64 s[10:11], s[8:9], s[10:11]
	v_cndmask_b32_e32 v35, v33, v19, vcc
	v_cndmask_b32_e32 v34, v32, v18, vcc
	v_cmp_nlt_f64_e64 s[6:7], v[34:35], v[28:29]
	v_cndmask_b32_e32 v21, v19, v33, vcc
	v_cndmask_b32_e32 v20, v18, v32, vcc
	v_cndmask_b32_e64 v33, v35, v29, s[6:7]
	v_cndmask_b32_e64 v32, v34, v28, s[6:7]
	v_cmp_nlt_f64_e64 s[8:9], v[32:33], v[26:27]
	v_cndmask_b32_e64 v19, v29, v35, s[6:7]
	v_cndmask_b32_e64 v18, v28, v34, s[6:7]
	s_and_b64 s[6:7], vcc, s[6:7]
	v_cndmask_b32_e64 v35, v33, v27, s[8:9]
	v_cndmask_b32_e64 v34, v32, v26, s[8:9]
	v_cmp_nlt_f64_e32 vcc, v[34:35], v[24:25]
	v_cndmask_b32_e64 v29, v27, v33, s[8:9]
	v_cndmask_b32_e64 v28, v26, v32, s[8:9]
	s_and_b64 s[8:9], s[6:7], s[8:9]
	v_cndmask_b32_e32 v33, v35, v25, vcc
	v_cndmask_b32_e32 v32, v34, v24, vcc
	v_cmp_nlt_f64_e64 s[6:7], v[32:33], v[22:23]
	v_cndmask_b32_e32 v27, v25, v35, vcc
	v_cndmask_b32_e32 v26, v24, v34, vcc
	s_and_b64 s[8:9], s[8:9], vcc
	v_cndmask_b32_e64 v35, v33, v23, s[6:7]
	v_cndmask_b32_e64 v34, v32, v22, s[6:7]
	v_cmp_nlt_f64_e32 vcc, v[34:35], v[16:17]
	v_cndmask_b32_e64 v25, v23, v33, s[6:7]
	v_cndmask_b32_e64 v24, v22, v32, s[6:7]
	s_and_b64 s[8:9], s[8:9], s[6:7]
	v_cndmask_b32_e32 v37, v35, v17, vcc
	v_cndmask_b32_e32 v36, v34, v16, vcc
	v_cmp_nlt_f64_e64 s[6:7], v[36:37], v[30:31]
	s_and_b64 s[8:9], s[8:9], vcc
	v_cndmask_b32_e32 v23, v17, v35, vcc
	v_cndmask_b32_e32 v22, v16, v34, vcc
	v_cndmask_b32_e64 v33, v37, v31, s[6:7]
	v_cndmask_b32_e64 v32, v36, v30, s[6:7]
	;; [unrolled: 1-line block ×4, first 2 shown]
	s_and_b64 s[6:7], s[8:9], s[6:7]
	s_and_b64 s[6:7], s[6:7], s[10:11]
	;; [unrolled: 1-line block ×3, first 2 shown]
	s_and_b64 s[6:7], exec, s[6:7]
	v_mov_b32_e32 v30, v32
	s_or_b64 s[24:25], s[6:7], s[24:25]
	v_mov_b32_e32 v31, v33
	s_andn2_b64 exec, exec, s[24:25]
	s_cbranch_execnz .LBB36_11
; %bb.12:
	s_or_b64 exec, exec, s[24:25]
	v_add_f64 v[8:9], v[8:9], -1.0
	s_mov_b32 s7, 0x3fe55555
	s_mov_b32 s6, 0x55555555
	;; [unrolled: 1-line block ×7, first 2 shown]
	v_add_f64 v[8:9], v[8:9], v[10:11]
	v_add_f64 v[8:9], v[8:9], v[14:15]
	;; [unrolled: 1-line block ×11, first 2 shown]
	v_add_f64 v[11:12], v[9:10], 1.0
	v_add_f64 v[13:14], v[11:12], -1.0
	v_frexp_exp_i32_f64_e32 v8, v[11:12]
	v_add_f64 v[15:16], v[13:14], -v[11:12]
	v_add_f64 v[13:14], v[9:10], -v[13:14]
	v_add_f64 v[15:16], v[15:16], 1.0
	v_add_f64 v[13:14], v[13:14], v[15:16]
	v_frexp_mant_f64_e32 v[15:16], v[11:12]
	v_cmp_gt_f64_e32 vcc, s[6:7], v[15:16]
	s_mov_b32 s6, 0x55555780
	v_subbrev_co_u32_e32 v8, vcc, 0, v8, vcc
	v_sub_u32_e32 v15, 0, v8
	v_ldexp_f64 v[11:12], v[11:12], v15
	v_ldexp_f64 v[13:14], v[13:14], v15
	v_add_f64 v[15:16], v[11:12], -1.0
	v_add_f64 v[17:18], v[15:16], 1.0
	v_add_f64 v[17:18], v[11:12], -v[17:18]
	v_add_f64 v[17:18], v[13:14], v[17:18]
	v_add_f64 v[19:20], v[15:16], v[17:18]
	v_add_f64 v[15:16], v[19:20], -v[15:16]
	v_add_f64 v[15:16], v[17:18], -v[15:16]
	v_add_f64 v[17:18], v[11:12], 1.0
	v_add_f64 v[21:22], v[17:18], -1.0
	v_add_f64 v[11:12], v[11:12], -v[21:22]
	v_add_f64 v[11:12], v[13:14], v[11:12]
	v_add_f64 v[13:14], v[17:18], v[11:12]
	v_add_f64 v[17:18], v[13:14], -v[17:18]
	v_add_f64 v[11:12], v[11:12], -v[17:18]
	v_rcp_f64_e32 v[17:18], v[13:14]
	v_fma_f64 v[21:22], -v[13:14], v[17:18], 1.0
	v_fma_f64 v[17:18], v[21:22], v[17:18], v[17:18]
	v_fma_f64 v[21:22], -v[13:14], v[17:18], 1.0
	v_fma_f64 v[17:18], v[21:22], v[17:18], v[17:18]
	v_mul_f64 v[21:22], v[19:20], v[17:18]
	v_mul_f64 v[23:24], v[13:14], v[21:22]
	v_fma_f64 v[25:26], v[21:22], v[13:14], -v[23:24]
	v_fma_f64 v[25:26], v[21:22], v[11:12], v[25:26]
	v_add_f64 v[27:28], v[23:24], v[25:26]
	v_add_f64 v[29:30], v[19:20], -v[27:28]
	v_add_f64 v[23:24], v[27:28], -v[23:24]
	;; [unrolled: 1-line block ×4, first 2 shown]
	v_add_f64 v[15:16], v[15:16], v[19:20]
	v_add_f64 v[19:20], v[23:24], -v[25:26]
	v_add_f64 v[15:16], v[19:20], v[15:16]
	v_add_f64 v[19:20], v[29:30], v[15:16]
	v_add_f64 v[23:24], v[29:30], -v[19:20]
	v_add_f64 v[15:16], v[15:16], v[23:24]
	v_mul_f64 v[23:24], v[17:18], v[19:20]
	v_mul_f64 v[25:26], v[13:14], v[23:24]
	v_fma_f64 v[13:14], v[23:24], v[13:14], -v[25:26]
	v_fma_f64 v[11:12], v[23:24], v[11:12], v[13:14]
	v_add_f64 v[13:14], v[25:26], v[11:12]
	v_add_f64 v[27:28], v[19:20], -v[13:14]
	v_add_f64 v[25:26], v[13:14], -v[25:26]
	;; [unrolled: 1-line block ×5, first 2 shown]
	v_cvt_f64_i32_e32 v[19:20], v8
	v_mov_b32_e32 v8, 0x7ff00000
	v_add_f64 v[13:14], v[15:16], v[13:14]
	v_add_f64 v[11:12], v[11:12], v[13:14]
	;; [unrolled: 1-line block ×4, first 2 shown]
	v_add_f64 v[15:16], v[13:14], -v[21:22]
	v_mul_f64 v[11:12], v[17:18], v[11:12]
	v_add_f64 v[15:16], v[23:24], -v[15:16]
	v_mov_b32_e32 v17, 0x6b47b09a
	v_mov_b32_e32 v18, 0x3fc38538
	v_add_f64 v[11:12], v[15:16], v[11:12]
	v_add_f64 v[15:16], v[13:14], v[11:12]
	v_add_f64 v[13:14], v[15:16], -v[13:14]
	v_add_f64 v[11:12], v[11:12], -v[13:14]
	v_mul_f64 v[13:14], v[15:16], v[15:16]
	v_ldexp_f64 v[11:12], v[11:12], 1
	v_fma_f64 v[17:18], v[13:14], s[8:9], v[17:18]
	s_mov_b32 s8, 0xd7f4df2e
	s_mov_b32 s9, 0x3fc7474d
	v_fma_f64 v[17:18], v[13:14], v[17:18], s[8:9]
	s_mov_b32 s8, 0x16291751
	s_mov_b32 s9, 0x3fcc71c0
	;; [unrolled: 3-line block ×4, first 2 shown]
	v_fma_f64 v[17:18], v[13:14], v[17:18], s[8:9]
	s_movk_i32 s8, 0x204
	v_fma_f64 v[17:18], v[13:14], v[17:18], s[6:7]
	s_mov_b32 s6, 0xfefa39ef
	s_mov_b32 s7, 0x3fe62e42
	v_mul_f64 v[21:22], v[19:20], s[6:7]
	v_mul_f64 v[13:14], v[15:16], v[13:14]
	v_fma_f64 v[23:24], v[19:20], s[6:7], -v[21:22]
	s_mov_b32 s6, 0x3b39803f
	s_mov_b32 s7, 0x3c7abc9e
	v_mul_f64 v[13:14], v[13:14], v[17:18]
	v_fma_f64 v[19:20], v[19:20], s[6:7], v[23:24]
	s_mov_b32 s6, 0
	s_mov_b32 s7, 0x7ff00000
	v_cmp_neq_f64_e32 vcc, s[6:7], v[9:10]
	v_cmp_ngt_f64_e64 s[6:7], -1.0, v[9:10]
	v_add_f64 v[23:24], v[21:22], v[19:20]
	v_add_f64 v[21:22], v[23:24], -v[21:22]
	v_add_f64 v[19:20], v[19:20], -v[21:22]
	v_ldexp_f64 v[21:22], v[15:16], 1
	v_add_f64 v[15:16], v[21:22], v[13:14]
	v_add_f64 v[17:18], v[15:16], -v[21:22]
	v_add_f64 v[13:14], v[13:14], -v[17:18]
	v_add_f64 v[11:12], v[11:12], v[13:14]
	v_add_f64 v[13:14], v[15:16], v[11:12]
	v_add_f64 v[15:16], v[13:14], -v[15:16]
	v_add_f64 v[11:12], v[11:12], -v[15:16]
	v_add_f64 v[15:16], v[23:24], v[13:14]
	v_add_f64 v[17:18], v[15:16], -v[23:24]
	v_add_f64 v[21:22], v[15:16], -v[17:18]
	v_add_f64 v[13:14], v[13:14], -v[17:18]
	v_add_f64 v[17:18], v[19:20], v[11:12]
	v_add_f64 v[21:22], v[23:24], -v[21:22]
	v_add_f64 v[13:14], v[13:14], v[21:22]
	v_add_f64 v[21:22], v[17:18], -v[19:20]
	;; [unrolled: 2-line block ×3, first 2 shown]
	v_add_f64 v[11:12], v[11:12], -v[21:22]
	v_add_f64 v[17:18], v[15:16], v[13:14]
	v_add_f64 v[19:20], v[19:20], -v[23:24]
	v_add_f64 v[15:16], v[17:18], -v[15:16]
	v_add_f64 v[11:12], v[11:12], v[19:20]
	v_add_f64 v[13:14], v[13:14], -v[15:16]
	v_add_f64 v[11:12], v[11:12], v[13:14]
	v_add_f64 v[11:12], v[17:18], v[11:12]
	v_mul_f64 v[11:12], v[11:12], 0.5
	v_cndmask_b32_e32 v8, v8, v12, vcc
	v_mov_b32_e32 v12, 0x7ff80000
	v_cndmask_b32_e64 v12, v12, v8, s[6:7]
	v_cmp_nge_f64_e64 s[6:7], -1.0, v[9:10]
	s_and_b64 vcc, s[6:7], vcc
	v_cndmask_b32_e32 v8, 0, v11, vcc
	v_cmp_neq_f64_e32 vcc, -1.0, v[9:10]
	v_mov_b32_e32 v9, 0xfff00000
	v_max_f64 v[10:11], |v[2:3]|, |v[2:3]|
	v_cndmask_b32_e32 v9, v9, v12, vcc
	v_max_f64 v[12:13], |v[0:1]|, |v[0:1]|
	v_max_f64 v[14:15], v[12:13], v[10:11]
	v_min_f64 v[10:11], v[12:13], v[10:11]
	v_div_scale_f64 v[12:13], s[6:7], v[14:15], v[14:15], v[10:11]
	s_mov_b32 s6, 0xb5e68a13
	s_mov_b32 s7, 0x3eeba404
	v_rcp_f64_e32 v[16:17], v[12:13]
	v_fma_f64 v[18:19], -v[12:13], v[16:17], 1.0
	v_fma_f64 v[16:17], v[16:17], v[18:19], v[16:17]
	v_fma_f64 v[18:19], -v[12:13], v[16:17], 1.0
	v_fma_f64 v[16:17], v[16:17], v[18:19], v[16:17]
	v_div_scale_f64 v[18:19], vcc, v[10:11], v[14:15], v[10:11]
	v_mul_f64 v[20:21], v[18:19], v[16:17]
	v_fma_f64 v[12:13], -v[12:13], v[20:21], v[18:19]
	s_nop 1
	v_div_fmas_f64 v[12:13], v[12:13], v[16:17], v[20:21]
	v_div_fixup_f64 v[10:11], v[12:13], v[14:15], v[10:11]
	v_mov_b32_e32 v14, 0xbd3237f4
	v_mov_b32_e32 v15, 0xbf23e260
	v_mul_f64 v[12:13], v[10:11], v[10:11]
	v_fma_f64 v[14:15], v[12:13], s[6:7], v[14:15]
	s_mov_b32 s6, 0x69efb384
	s_mov_b32 s7, 0x3f4b2bb0
	v_fma_f64 v[14:15], v[12:13], v[14:15], s[6:7]
	s_mov_b32 s6, 0xaf56de9b
	s_mov_b32 s7, 0xbf67952d
	;; [unrolled: 3-line block ×18, first 2 shown]
	v_fma_f64 v[14:15], v[12:13], v[14:15], s[6:7]
	v_cmp_class_f64_e64 s[6:7], v[2:3], s8
	v_cmp_class_f64_e64 s[8:9], v[0:1], s8
	v_mov_b32_e32 v0, 0x54442d18
	v_mul_f64 v[12:13], v[12:13], v[14:15]
	s_and_b64 vcc, s[8:9], s[6:7]
	v_cmp_gt_i32_e64 s[6:7], 0, v1
	s_brev_b32 s8, -2
	v_fma_f64 v[10:11], v[10:11], v[12:13], v[10:11]
	v_mov_b32_e32 v12, 0x7f3321d2
	v_cndmask_b32_e64 v12, v0, v12, s[6:7]
	v_mov_b32_e32 v0, 0x3fe921fb
	v_mov_b32_e32 v13, 0x4002d97c
	v_cndmask_b32_e64 v0, v0, v13, s[6:7]
	v_bfi_b32 v13, s8, v0, v3
	v_ashrrev_i32_e32 v0, 31, v1
	v_and_b32_e32 v14, 0x400921fb, v0
	v_and_b32_e32 v15, 0x54442d18, v0
	v_add_f64 v[0:1], -v[10:11], s[10:11]
	s_mov_b32 s11, s24
	v_cmp_eq_f64_e64 s[8:9], 0, v[2:3]
	v_cndmask_b32_e64 v1, v11, v1, s[4:5]
	v_cndmask_b32_e64 v0, v10, v0, s[4:5]
	v_add_f64 v[10:11], -v[0:1], s[10:11]
	v_cndmask_b32_e64 v1, v1, v11, s[6:7]
	v_cndmask_b32_e64 v0, v0, v10, s[6:7]
	;; [unrolled: 1-line block ×4, first 2 shown]
	v_cndmask_b32_e32 v13, v1, v13, vcc
	v_cndmask_b32_e32 v12, v0, v12, vcc
.LBB36_13:
	s_or_b64 exec, exec, s[22:23]
.LBB36_14:
	s_or_b64 exec, exec, s[20:21]
                                        ; implicit-def: $vgpr0_vgpr1
.LBB36_15:
	s_andn2_saveexec_b64 s[10:11], s[18:19]
	s_cbranch_execz .LBB36_17
; %bb.16:
	v_max_f64 v[10:11], |v[2:3]|, |v[2:3]|
	v_max_f64 v[12:13], |v[0:1]|, |v[0:1]|
	s_movk_i32 s22, 0x204
	v_cmp_class_f64_e64 s[6:7], v[0:1], s22
	v_cmp_class_f64_e64 s[8:9], v[2:3], s22
	s_mov_b32 s19, 0x3fe55555
	s_mov_b32 s18, 0x55555555
	s_mov_b32 s20, 0xbf559e2b
	s_mov_b32 s21, 0x3fc3ab76
	v_max_f64 v[14:15], v[12:13], v[10:11]
	v_min_f64 v[10:11], v[12:13], v[10:11]
	v_frexp_exp_i32_f64_e32 v22, v[14:15]
	v_sub_u32_e32 v16, 0, v22
	v_ldexp_f64 v[8:9], |v[0:1]|, v16
	v_ldexp_f64 v[16:17], |v[2:3]|, v16
	v_mov_b32_e32 v0, 0x7ff00000
	v_mul_f64 v[16:17], v[16:17], v[16:17]
	v_fma_f64 v[8:9], v[8:9], v[8:9], v[16:17]
	v_rsq_f64_e32 v[16:17], v[8:9]
	v_cmp_eq_f64_e32 vcc, 0, v[8:9]
	v_mul_f64 v[18:19], v[8:9], v[16:17]
	v_mul_f64 v[16:17], v[16:17], 0.5
	v_fma_f64 v[20:21], -v[16:17], v[18:19], 0.5
	v_fma_f64 v[18:19], v[18:19], v[20:21], v[18:19]
	v_fma_f64 v[16:17], v[16:17], v[20:21], v[16:17]
	v_fma_f64 v[20:21], -v[18:19], v[18:19], v[8:9]
	v_fma_f64 v[16:17], v[20:21], v[16:17], v[18:19]
	v_cndmask_b32_e32 v9, v17, v9, vcc
	v_cndmask_b32_e32 v8, v16, v8, vcc
	v_ldexp_f64 v[8:9], v[8:9], v22
	s_or_b64 vcc, s[6:7], s[8:9]
	v_cndmask_b32_e32 v17, v9, v0, vcc
	v_cndmask_b32_e64 v16, v8, 0, vcc
	v_frexp_mant_f64_e32 v[8:9], v[16:17]
	v_frexp_exp_i32_f64_e32 v0, v[16:17]
	v_cmp_gt_f64_e32 vcc, s[18:19], v[8:9]
	s_mov_b32 s18, 0x55555780
	v_cndmask_b32_e64 v18, 0, 1, vcc
	v_ldexp_f64 v[8:9], v[8:9], v18
	v_subbrev_co_u32_e32 v0, vcc, 0, v0, vcc
	v_cmp_class_f64_e64 vcc, v[16:17], s22
	v_add_f64 v[20:21], v[8:9], 1.0
	v_add_f64 v[18:19], v[8:9], -1.0
	v_add_f64 v[22:23], v[20:21], -1.0
	v_add_f64 v[8:9], v[8:9], -v[22:23]
	v_rcp_f64_e32 v[22:23], v[20:21]
	v_fma_f64 v[24:25], -v[20:21], v[22:23], 1.0
	v_fma_f64 v[22:23], v[24:25], v[22:23], v[22:23]
	v_fma_f64 v[24:25], -v[20:21], v[22:23], 1.0
	v_fma_f64 v[22:23], v[24:25], v[22:23], v[22:23]
	v_mul_f64 v[24:25], v[18:19], v[22:23]
	v_mul_f64 v[26:27], v[20:21], v[24:25]
	v_fma_f64 v[20:21], v[24:25], v[20:21], -v[26:27]
	v_fma_f64 v[8:9], v[24:25], v[8:9], v[20:21]
	v_add_f64 v[20:21], v[26:27], v[8:9]
	v_add_f64 v[28:29], v[18:19], -v[20:21]
	v_add_f64 v[26:27], v[20:21], -v[26:27]
	;; [unrolled: 1-line block ×5, first 2 shown]
	v_add_f64 v[8:9], v[8:9], v[18:19]
	v_add_f64 v[8:9], v[28:29], v[8:9]
	v_mul_f64 v[8:9], v[22:23], v[8:9]
	v_mov_b32_e32 v22, 0x6b47b09a
	v_mov_b32_e32 v23, 0x3fc38538
	v_add_f64 v[18:19], v[24:25], v[8:9]
	v_add_f64 v[20:21], v[18:19], -v[24:25]
	v_ldexp_f64 v[24:25], v[18:19], 1
	v_add_f64 v[8:9], v[8:9], -v[20:21]
	v_mul_f64 v[20:21], v[18:19], v[18:19]
	v_ldexp_f64 v[8:9], v[8:9], 1
	v_fma_f64 v[22:23], v[20:21], s[20:21], v[22:23]
	s_mov_b32 s20, 0xd7f4df2e
	s_mov_b32 s21, 0x3fc7474d
	v_mul_f64 v[18:19], v[18:19], v[20:21]
	v_fma_f64 v[22:23], v[20:21], v[22:23], s[20:21]
	s_mov_b32 s20, 0x16291751
	s_mov_b32 s21, 0x3fcc71c0
	v_fma_f64 v[22:23], v[20:21], v[22:23], s[20:21]
	s_mov_b32 s20, 0x9b27acf1
	s_mov_b32 s21, 0x3fd24924
	;; [unrolled: 3-line block ×3, first 2 shown]
	v_fma_f64 v[22:23], v[20:21], v[22:23], s[20:21]
	s_mov_b32 s20, 0x400921fb
	v_fma_f64 v[22:23], v[20:21], v[22:23], s[18:19]
	s_mov_b32 s18, 0xfefa39ef
	s_mov_b32 s19, 0x3fe62e42
	v_mul_f64 v[18:19], v[18:19], v[22:23]
	v_add_f64 v[20:21], v[24:25], v[18:19]
	v_add_f64 v[22:23], v[20:21], -v[24:25]
	v_add_f64 v[18:19], v[18:19], -v[22:23]
	v_add_f64 v[8:9], v[8:9], v[18:19]
	v_add_f64 v[18:19], v[20:21], v[8:9]
	v_add_f64 v[20:21], v[18:19], -v[20:21]
	v_add_f64 v[8:9], v[8:9], -v[20:21]
	v_cvt_f64_i32_e32 v[20:21], v0
	v_mul_f64 v[22:23], v[20:21], s[18:19]
	v_fma_f64 v[24:25], v[20:21], s[18:19], -v[22:23]
	s_mov_b32 s18, 0x3b39803f
	s_mov_b32 s19, 0x3c7abc9e
	v_fma_f64 v[20:21], v[20:21], s[18:19], v[24:25]
	v_div_scale_f64 v[12:13], s[18:19], v[14:15], v[14:15], v[10:11]
	s_mov_b32 s18, 0xb5e68a13
	s_mov_b32 s19, 0x3eeba404
	v_add_f64 v[24:25], v[22:23], v[20:21]
	v_add_f64 v[22:23], v[24:25], -v[22:23]
	v_add_f64 v[20:21], v[20:21], -v[22:23]
	v_add_f64 v[22:23], v[24:25], v[18:19]
	v_add_f64 v[26:27], v[22:23], -v[24:25]
	v_add_f64 v[28:29], v[22:23], -v[26:27]
	v_add_f64 v[18:19], v[18:19], -v[26:27]
	v_add_f64 v[24:25], v[24:25], -v[28:29]
	v_add_f64 v[18:19], v[18:19], v[24:25]
	v_add_f64 v[24:25], v[20:21], v[8:9]
	v_add_f64 v[26:27], v[24:25], -v[20:21]
	v_add_f64 v[18:19], v[24:25], v[18:19]
	v_add_f64 v[28:29], v[24:25], -v[26:27]
	v_add_f64 v[8:9], v[8:9], -v[26:27]
	;; [unrolled: 1-line block ×3, first 2 shown]
	v_add_f64 v[8:9], v[8:9], v[20:21]
	v_add_f64 v[20:21], v[22:23], v[18:19]
	v_add_f64 v[22:23], v[20:21], -v[22:23]
	v_add_f64 v[18:19], v[18:19], -v[22:23]
	v_add_f64 v[8:9], v[8:9], v[18:19]
	v_add_f64 v[8:9], v[20:21], v[8:9]
	v_cndmask_b32_e32 v0, v8, v16, vcc
	v_cndmask_b32_e32 v8, v9, v17, vcc
	v_cmp_ngt_f64_e32 vcc, 0, v[16:17]
	v_mov_b32_e32 v9, 0x7ff80000
	v_cndmask_b32_e32 v9, v9, v8, vcc
	v_cmp_nge_f64_e32 vcc, 0, v[16:17]
	v_cndmask_b32_e32 v8, 0, v0, vcc
	v_cmp_neq_f64_e32 vcc, 0, v[16:17]
	v_rcp_f64_e32 v[16:17], v[12:13]
	v_mov_b32_e32 v0, 0xfff00000
	v_cndmask_b32_e32 v9, v0, v9, vcc
	v_mov_b32_e32 v0, 0x54442d18
	v_fma_f64 v[18:19], -v[12:13], v[16:17], 1.0
	v_fma_f64 v[16:17], v[16:17], v[18:19], v[16:17]
	v_fma_f64 v[18:19], -v[12:13], v[16:17], 1.0
	v_fma_f64 v[16:17], v[16:17], v[18:19], v[16:17]
	v_div_scale_f64 v[18:19], vcc, v[10:11], v[14:15], v[10:11]
	v_mul_f64 v[20:21], v[18:19], v[16:17]
	v_fma_f64 v[12:13], -v[12:13], v[20:21], v[18:19]
	s_nop 1
	v_div_fmas_f64 v[12:13], v[12:13], v[16:17], v[20:21]
	s_and_b64 vcc, s[6:7], s[8:9]
	v_cmp_gt_i32_e64 s[6:7], 0, v1
	s_brev_b32 s8, -2
	v_div_fixup_f64 v[10:11], v[12:13], v[14:15], v[10:11]
	v_mov_b32_e32 v14, 0xbd3237f4
	v_mov_b32_e32 v15, 0xbf23e260
	v_mul_f64 v[12:13], v[10:11], v[10:11]
	v_fma_f64 v[14:15], v[12:13], s[18:19], v[14:15]
	s_mov_b32 s18, 0x69efb384
	s_mov_b32 s19, 0x3f4b2bb0
	v_fma_f64 v[14:15], v[12:13], v[14:15], s[18:19]
	s_mov_b32 s18, 0xaf56de9b
	s_mov_b32 s19, 0xbf67952d
	;; [unrolled: 3-line block ×19, first 2 shown]
	v_mul_f64 v[12:13], v[12:13], v[14:15]
	v_fma_f64 v[10:11], v[10:11], v[12:13], v[10:11]
	v_mov_b32_e32 v12, 0x7f3321d2
	v_cndmask_b32_e64 v12, v0, v12, s[6:7]
	v_mov_b32_e32 v0, 0x3fe921fb
	v_mov_b32_e32 v13, 0x4002d97c
	v_cndmask_b32_e64 v0, v0, v13, s[6:7]
	v_bfi_b32 v13, s8, v0, v3
	v_ashrrev_i32_e32 v0, 31, v1
	v_and_b32_e32 v14, 0x400921fb, v0
	v_and_b32_e32 v15, 0x54442d18, v0
	v_add_f64 v[0:1], -v[10:11], s[18:19]
	s_mov_b32 s19, s20
	v_cmp_eq_f64_e64 s[8:9], 0, v[2:3]
	v_cndmask_b32_e64 v1, v11, v1, s[4:5]
	v_cndmask_b32_e64 v0, v10, v0, s[4:5]
	v_add_f64 v[10:11], -v[0:1], s[18:19]
	v_cndmask_b32_e64 v1, v1, v11, s[6:7]
	v_cndmask_b32_e64 v0, v0, v10, s[6:7]
	v_cndmask_b32_e64 v0, v0, v15, s[8:9]
	v_cndmask_b32_e64 v1, v1, v14, s[8:9]
	v_cndmask_b32_e32 v13, v1, v13, vcc
	v_cndmask_b32_e32 v12, v0, v12, vcc
.LBB36_17:
	s_or_b64 exec, exec, s[10:11]
                                        ; implicit-def: $vgpr10_vgpr11
                                        ; implicit-def: $vgpr0_vgpr1
.LBB36_18:
	s_andn2_saveexec_b64 s[10:11], s[16:17]
	s_cbranch_execz .LBB36_24
; %bb.19:
	s_mov_b32 s6, 0x6a3f9475
	s_mov_b32 s7, 0x20ca2fe7
	v_cmp_ngt_f64_e32 vcc, s[6:7], v[10:11]
                                        ; implicit-def: $vgpr8_vgpr9
                                        ; implicit-def: $vgpr12_vgpr13
	s_and_saveexec_b64 s[6:7], vcc
	s_xor_b64 s[16:17], exec, s[6:7]
	s_cbranch_execz .LBB36_21
; %bb.20:
	v_mul_f64 v[8:9], v[10:11], v[10:11]
	s_mov_b32 s7, 0x3fe55555
	s_mov_b32 s6, 0x55555555
	;; [unrolled: 1-line block ×4, first 2 shown]
	s_movk_i32 s20, 0x204
	s_brev_b32 s22, -2
	v_add_f64 v[10:11], v[8:9], 1.0
	v_frexp_mant_f64_e32 v[14:15], v[10:11]
	v_frexp_exp_i32_f64_e32 v18, v[10:11]
	v_add_f64 v[12:13], v[10:11], -1.0
	v_cmp_gt_f64_e32 vcc, s[6:7], v[14:15]
	s_mov_b32 s6, 0x55555780
	v_add_f64 v[16:17], v[12:13], -v[10:11]
	v_add_f64 v[12:13], v[8:9], -v[12:13]
	v_subbrev_co_u32_e32 v32, vcc, 0, v18, vcc
	v_sub_u32_e32 v18, 0, v32
	v_ldexp_f64 v[10:11], v[10:11], v18
	v_add_f64 v[14:15], v[16:17], 1.0
	v_add_f64 v[16:17], v[10:11], 1.0
	v_add_f64 v[12:13], v[12:13], v[14:15]
	v_add_f64 v[20:21], v[10:11], -1.0
	v_add_f64 v[14:15], v[16:17], -1.0
	v_ldexp_f64 v[12:13], v[12:13], v18
	v_add_f64 v[24:25], v[20:21], 1.0
	v_add_f64 v[14:15], v[10:11], -v[14:15]
	v_add_f64 v[10:11], v[10:11], -v[24:25]
	v_add_f64 v[14:15], v[12:13], v[14:15]
	v_add_f64 v[10:11], v[12:13], v[10:11]
	;; [unrolled: 1-line block ×3, first 2 shown]
	v_rcp_f64_e32 v[22:23], v[18:19]
	v_add_f64 v[16:17], v[16:17], -v[18:19]
	v_add_f64 v[14:15], v[14:15], v[16:17]
	v_fma_f64 v[24:25], -v[18:19], v[22:23], 1.0
	v_fma_f64 v[22:23], v[24:25], v[22:23], v[22:23]
	v_add_f64 v[24:25], v[20:21], v[10:11]
	v_fma_f64 v[12:13], -v[18:19], v[22:23], 1.0
	v_add_f64 v[20:21], v[20:21], -v[24:25]
	v_fma_f64 v[12:13], v[12:13], v[22:23], v[22:23]
	v_add_f64 v[10:11], v[10:11], v[20:21]
	v_mul_f64 v[22:23], v[24:25], v[12:13]
	v_mul_f64 v[20:21], v[18:19], v[22:23]
	v_fma_f64 v[16:17], v[22:23], v[18:19], -v[20:21]
	v_fma_f64 v[16:17], v[22:23], v[14:15], v[16:17]
	v_add_f64 v[26:27], v[20:21], v[16:17]
	v_add_f64 v[28:29], v[24:25], -v[26:27]
	v_add_f64 v[20:21], v[26:27], -v[20:21]
	;; [unrolled: 1-line block ×5, first 2 shown]
	v_add_f64 v[10:11], v[10:11], v[24:25]
	v_add_f64 v[10:11], v[16:17], v[10:11]
	;; [unrolled: 1-line block ×3, first 2 shown]
	v_mul_f64 v[20:21], v[12:13], v[16:17]
	v_mul_f64 v[24:25], v[18:19], v[20:21]
	v_fma_f64 v[18:19], v[20:21], v[18:19], -v[24:25]
	v_fma_f64 v[14:15], v[20:21], v[14:15], v[18:19]
	v_add_f64 v[18:19], v[28:29], -v[16:17]
	v_max_f64 v[28:29], |v[0:1]|, |v[0:1]|
	v_add_f64 v[10:11], v[10:11], v[18:19]
	v_add_f64 v[18:19], v[24:25], v[14:15]
	v_add_f64 v[26:27], v[16:17], -v[18:19]
	v_add_f64 v[24:25], v[18:19], -v[24:25]
	;; [unrolled: 1-line block ×5, first 2 shown]
	v_max_f64 v[18:19], |v[2:3]|, |v[2:3]|
	v_add_f64 v[10:11], v[10:11], v[16:17]
	v_max_f64 v[30:31], v[28:29], v[18:19]
	v_min_f64 v[18:19], v[28:29], v[18:19]
	v_add_f64 v[10:11], v[14:15], v[10:11]
	v_div_scale_f64 v[16:17], s[8:9], v[30:31], v[30:31], v[18:19]
	s_mov_b32 s8, 0xbf559e2b
	s_mov_b32 s9, 0x3fc3ab76
	v_add_f64 v[10:11], v[26:27], v[10:11]
	v_mul_f64 v[10:11], v[12:13], v[10:11]
	v_div_scale_f64 v[12:13], vcc, v[18:19], v[30:31], v[18:19]
	v_rcp_f64_e32 v[24:25], v[16:17]
	v_fma_f64 v[28:29], -v[16:17], v[24:25], 1.0
	v_fma_f64 v[24:25], v[24:25], v[28:29], v[24:25]
	v_fma_f64 v[14:15], -v[16:17], v[24:25], 1.0
	v_fma_f64 v[14:15], v[24:25], v[14:15], v[24:25]
	v_add_f64 v[24:25], v[22:23], v[20:21]
	v_add_f64 v[22:23], v[24:25], -v[22:23]
	v_add_f64 v[20:21], v[20:21], -v[22:23]
	v_cvt_f64_i32_e32 v[22:23], v32
	v_add_f64 v[10:11], v[20:21], v[10:11]
	v_mul_f64 v[20:21], v[12:13], v[14:15]
	v_fma_f64 v[12:13], -v[16:17], v[20:21], v[12:13]
	v_add_f64 v[16:17], v[24:25], v[10:11]
	v_div_fmas_f64 v[12:13], v[12:13], v[14:15], v[20:21]
	v_mul_f64 v[14:15], v[16:17], v[16:17]
	v_mov_b32_e32 v20, 0x6b47b09a
	v_mov_b32_e32 v21, 0x3fc38538
	v_add_f64 v[24:25], v[16:17], -v[24:25]
	v_cmp_gt_i32_e32 vcc, 0, v1
	v_fma_f64 v[20:21], v[14:15], s[8:9], v[20:21]
	s_mov_b32 s8, 0xd7f4df2e
	s_mov_b32 s9, 0x3fc7474d
	v_add_f64 v[10:11], v[10:11], -v[24:25]
	v_div_fixup_f64 v[12:13], v[12:13], v[30:31], v[18:19]
	v_fma_f64 v[20:21], v[14:15], v[20:21], s[8:9]
	s_mov_b32 s8, 0x16291751
	s_mov_b32 s9, 0x3fcc71c0
	v_ldexp_f64 v[10:11], v[10:11], 1
	v_fma_f64 v[20:21], v[14:15], v[20:21], s[8:9]
	s_mov_b32 s8, 0x9b27acf1
	s_mov_b32 s9, 0x3fd24924
	v_fma_f64 v[20:21], v[14:15], v[20:21], s[8:9]
	s_mov_b32 s8, 0xfefa39ef
	s_mov_b32 s9, 0x3fe62e42
	v_mul_f64 v[18:19], v[22:23], s[8:9]
	v_fma_f64 v[20:21], v[14:15], v[20:21], s[18:19]
	v_cmp_class_f64_e64 s[18:19], v[2:3], s20
	v_cmp_class_f64_e64 s[20:21], v[0:1], s20
	v_fma_f64 v[26:27], v[22:23], s[8:9], -v[18:19]
	s_mov_b32 s8, 0
	s_mov_b32 s9, 0x7ff00000
	v_cmp_neq_f64_e64 s[8:9], s[8:9], v[8:9]
	v_fma_f64 v[20:21], v[14:15], v[20:21], s[6:7]
	s_mov_b32 s6, 0x3b39803f
	v_mul_f64 v[14:15], v[16:17], v[14:15]
	s_mov_b32 s7, 0x3c7abc9e
	v_fma_f64 v[22:23], v[22:23], s[6:7], v[26:27]
	v_mul_f64 v[26:27], v[12:13], v[12:13]
	s_mov_b32 s6, 0xb5e68a13
	s_mov_b32 s7, 0x3eeba404
	v_ldexp_f64 v[16:17], v[16:17], 1
	v_mul_f64 v[14:15], v[14:15], v[20:21]
	v_mov_b32_e32 v20, 0xbd3237f4
	v_mov_b32_e32 v21, 0xbf23e260
	v_fma_f64 v[20:21], v[26:27], s[6:7], v[20:21]
	s_mov_b32 s6, 0x69efb384
	s_mov_b32 s7, 0x3f4b2bb0
	v_add_f64 v[24:25], v[16:17], v[14:15]
	v_fma_f64 v[20:21], v[26:27], v[20:21], s[6:7]
	s_mov_b32 s6, 0xaf56de9b
	s_mov_b32 s7, 0xbf67952d
	v_add_f64 v[16:17], v[24:25], -v[16:17]
	v_fma_f64 v[20:21], v[26:27], v[20:21], s[6:7]
	s_mov_b32 s6, 0xa595c56f
	s_mov_b32 s7, 0x3f7d6d43
	v_add_f64 v[14:15], v[14:15], -v[16:17]
	v_add_f64 v[16:17], v[18:19], v[22:23]
	v_fma_f64 v[20:21], v[26:27], v[20:21], s[6:7]
	s_mov_b32 s6, 0xa57d9582
	s_mov_b32 s7, 0xbf8c6ea4
	v_add_f64 v[10:11], v[10:11], v[14:15]
	v_add_f64 v[14:15], v[16:17], -v[18:19]
	v_fma_f64 v[20:21], v[26:27], v[20:21], s[6:7]
	s_mov_b32 s6, 0x5f08b19f
	s_mov_b32 s7, 0x3f967e29
	v_add_f64 v[14:15], v[22:23], -v[14:15]
	v_fma_f64 v[20:21], v[26:27], v[20:21], s[6:7]
	s_mov_b32 s6, 0xfc27006a
	s_mov_b32 s7, 0xbf9e9ae6
	v_fma_f64 v[20:21], v[26:27], v[20:21], s[6:7]
	s_mov_b32 s6, 0x5711927a
	s_mov_b32 s7, 0x3fa2c15b
	;; [unrolled: 3-line block ×7, first 2 shown]
	v_fma_f64 v[18:19], v[26:27], v[20:21], s[6:7]
	v_add_f64 v[20:21], v[24:25], v[10:11]
	s_mov_b32 s6, 0x57b87036
	s_mov_b32 s7, 0x3fb3b136
	v_fma_f64 v[18:19], v[26:27], v[18:19], s[6:7]
	v_add_f64 v[22:23], v[20:21], -v[24:25]
	v_add_f64 v[24:25], v[16:17], v[20:21]
	s_mov_b32 s6, 0x19378e4f
	s_mov_b32 s7, 0xbfb745d1
	v_fma_f64 v[18:19], v[26:27], v[18:19], s[6:7]
	v_add_f64 v[10:11], v[10:11], -v[22:23]
	v_add_f64 v[22:23], v[24:25], -v[16:17]
	s_mov_b32 s6, 0x17e1913c
	s_mov_b32 s7, 0x3fbc71c7
	v_fma_f64 v[18:19], v[26:27], v[18:19], s[6:7]
	s_mov_b32 s6, 0x92376b7d
	v_add_f64 v[20:21], v[20:21], -v[22:23]
	v_add_f64 v[22:23], v[24:25], -v[22:23]
	s_mov_b32 s7, 0xbfc24924
	v_fma_f64 v[18:19], v[26:27], v[18:19], s[6:7]
	s_mov_b32 s6, 0x999952cc
	s_mov_b32 s7, 0x3fc99999
	v_add_f64 v[16:17], v[16:17], -v[22:23]
	v_add_f64 v[22:23], v[14:15], v[10:11]
	v_fma_f64 v[18:19], v[26:27], v[18:19], s[6:7]
	s_mov_b32 s6, 0x55555523
	s_mov_b32 s7, 0xbfd55555
	v_add_f64 v[16:17], v[20:21], v[16:17]
	v_add_f64 v[20:21], v[22:23], -v[14:15]
	v_fma_f64 v[18:19], v[26:27], v[18:19], s[6:7]
	s_mov_b32 s6, 0x54442d18
	s_mov_b32 s7, 0x3ff921fb
	v_add_f64 v[16:17], v[22:23], v[16:17]
	v_add_f64 v[22:23], v[22:23], -v[20:21]
	v_add_f64 v[10:11], v[10:11], -v[20:21]
	v_mul_f64 v[18:19], v[26:27], v[18:19]
	v_add_f64 v[26:27], v[24:25], v[16:17]
	v_add_f64 v[14:15], v[14:15], -v[22:23]
	v_mov_b32_e32 v22, 0x4002d97c
	v_fma_f64 v[12:13], v[12:13], v[18:19], v[12:13]
	v_mov_b32_e32 v19, 0x54442d18
	v_mov_b32_e32 v18, 0x7ff00000
	v_add_f64 v[20:21], v[26:27], -v[24:25]
	v_add_f64 v[10:11], v[10:11], v[14:15]
	v_add_f64 v[14:15], v[16:17], -v[20:21]
	v_add_f64 v[16:17], -v[12:13], s[6:7]
	s_mov_b32 s7, 0x400921fb
	v_mov_b32_e32 v20, 0x7f3321d2
	v_mov_b32_e32 v21, 0x3fe921fb
	v_add_f64 v[10:11], v[10:11], v[14:15]
	v_cndmask_b32_e64 v13, v13, v17, s[4:5]
	v_cndmask_b32_e64 v12, v12, v16, s[4:5]
	v_add_f64 v[14:15], -v[12:13], s[6:7]
	v_cmp_eq_f64_e64 s[6:7], 0, v[2:3]
	v_ashrrev_i32_e32 v16, 31, v1
	v_cndmask_b32_e32 v17, v19, v20, vcc
	v_and_b32_e32 v19, 0x54442d18, v16
	v_add_f64 v[10:11], v[26:27], v[10:11]
	v_and_b32_e32 v16, 0x400921fb, v16
	v_cndmask_b32_e32 v12, v12, v14, vcc
	v_cndmask_b32_e32 v14, v21, v22, vcc
	;; [unrolled: 1-line block ×3, first 2 shown]
	v_bfi_b32 v8, s22, v14, v3
	v_cndmask_b32_e64 v9, v9, v16, s[6:7]
	v_mul_f64 v[0:1], v[10:11], 0.5
	v_cndmask_b32_e64 v10, v12, v19, s[6:7]
	s_and_b64 vcc, s[20:21], s[18:19]
	v_cndmask_b32_e32 v13, v9, v8, vcc
	v_cndmask_b32_e32 v12, v10, v17, vcc
                                        ; implicit-def: $vgpr10_vgpr11
	v_cndmask_b32_e64 v9, v18, v1, s[8:9]
	v_cndmask_b32_e64 v8, 0, v0, s[8:9]
                                        ; implicit-def: $vgpr0_vgpr1
.LBB36_21:
	s_andn2_saveexec_b64 s[8:9], s[16:17]
	s_cbranch_execz .LBB36_23
; %bb.22:
	v_max_f64 v[8:9], |v[2:3]|, |v[2:3]|
	v_max_f64 v[12:13], |v[0:1]|, |v[0:1]|
	s_movk_i32 s18, 0x204
	v_cmp_class_f64_e64 s[16:17], v[2:3], s18
	v_cmp_class_f64_e64 s[18:19], v[0:1], s18
	s_brev_b32 s20, -2
	v_max_f64 v[14:15], v[12:13], v[8:9]
	v_min_f64 v[8:9], v[12:13], v[8:9]
	v_div_scale_f64 v[12:13], s[6:7], v[14:15], v[14:15], v[8:9]
	s_mov_b32 s6, 0xb5e68a13
	s_mov_b32 s7, 0x3eeba404
	v_rcp_f64_e32 v[16:17], v[12:13]
	v_fma_f64 v[18:19], -v[12:13], v[16:17], 1.0
	v_fma_f64 v[16:17], v[16:17], v[18:19], v[16:17]
	v_div_scale_f64 v[18:19], vcc, v[8:9], v[14:15], v[8:9]
	v_fma_f64 v[20:21], -v[12:13], v[16:17], 1.0
	v_fma_f64 v[16:17], v[16:17], v[20:21], v[16:17]
	v_mul_f64 v[20:21], v[18:19], v[16:17]
	v_fma_f64 v[12:13], -v[12:13], v[20:21], v[18:19]
	v_mov_b32_e32 v18, 0x54442d18
	v_mov_b32_e32 v19, 0x7f3321d2
	v_div_fmas_f64 v[12:13], v[12:13], v[16:17], v[20:21]
	v_mov_b32_e32 v20, 0x3fe921fb
	v_cmp_gt_i32_e32 vcc, 0, v1
	v_cndmask_b32_e32 v18, v18, v19, vcc
	v_div_fixup_f64 v[8:9], v[12:13], v[14:15], v[8:9]
	v_mov_b32_e32 v14, 0xbd3237f4
	v_mov_b32_e32 v15, 0xbf23e260
	v_mul_f64 v[12:13], v[8:9], v[8:9]
	v_fma_f64 v[14:15], v[12:13], s[6:7], v[14:15]
	s_mov_b32 s6, 0x69efb384
	s_mov_b32 s7, 0x3f4b2bb0
	v_fma_f64 v[14:15], v[12:13], v[14:15], s[6:7]
	s_mov_b32 s6, 0xaf56de9b
	s_mov_b32 s7, 0xbf67952d
	;; [unrolled: 3-line block ×19, first 2 shown]
	v_mul_f64 v[12:13], v[12:13], v[14:15]
	v_mul_f64 v[14:15], v[10:11], 0.5
	v_fma_f64 v[8:9], v[8:9], v[12:13], v[8:9]
	v_add_f64 v[12:13], -v[8:9], s[6:7]
	s_mov_b32 s7, 0x400921fb
	v_cndmask_b32_e64 v13, v9, v13, s[4:5]
	v_cndmask_b32_e64 v12, v8, v12, s[4:5]
	v_add_f64 v[16:17], -v[12:13], s[6:7]
	v_cmp_eq_f64_e64 s[6:7], 0, v[2:3]
	v_mov_b32_e32 v8, 0x4002d97c
	v_ashrrev_i32_e32 v9, 31, v1
	v_and_b32_e32 v19, 0x54442d18, v9
	v_cndmask_b32_e32 v0, v20, v8, vcc
	v_and_b32_e32 v1, 0x400921fb, v9
	v_mul_f64 v[8:9], v[10:11], v[14:15]
	v_cndmask_b32_e32 v12, v12, v16, vcc
	v_cndmask_b32_e32 v10, v13, v17, vcc
	v_bfi_b32 v0, s20, v0, v3
	v_cndmask_b32_e64 v11, v12, v19, s[6:7]
	v_cndmask_b32_e64 v1, v10, v1, s[6:7]
	s_and_b64 vcc, s[18:19], s[16:17]
	v_cndmask_b32_e32 v13, v1, v0, vcc
	v_cndmask_b32_e32 v12, v11, v18, vcc
.LBB36_23:
	s_or_b64 exec, exec, s[8:9]
.LBB36_24:
	s_or_b64 exec, exec, s[10:11]
                                        ; implicit-def: $vgpr0_vgpr1
.LBB36_25:
	s_andn2_saveexec_b64 s[10:11], s[14:15]
	s_cbranch_execz .LBB36_27
; %bb.26:
	s_mov_b32 s6, 0x8b145769
	s_mov_b32 s7, 0x4005bf0a
	v_div_scale_f64 v[8:9], s[8:9], s[6:7], s[6:7], v[0:1]
	v_mov_b32_e32 v25, 0x7ff80000
	s_mov_b32 s16, 0x400921fb
	v_rcp_f64_e32 v[10:11], v[8:9]
	v_fma_f64 v[12:13], -v[8:9], v[10:11], 1.0
	v_fma_f64 v[10:11], v[10:11], v[12:13], v[10:11]
	v_fma_f64 v[12:13], -v[8:9], v[10:11], 1.0
	v_fma_f64 v[10:11], v[10:11], v[12:13], v[10:11]
	v_div_scale_f64 v[12:13], vcc, v[0:1], s[6:7], v[0:1]
	v_mul_f64 v[14:15], v[12:13], v[10:11]
	v_fma_f64 v[8:9], -v[8:9], v[14:15], v[12:13]
	s_nop 1
	v_div_fmas_f64 v[8:9], v[8:9], v[10:11], v[14:15]
	v_div_scale_f64 v[10:11], s[8:9], s[6:7], s[6:7], v[2:3]
	v_div_fixup_f64 v[8:9], v[8:9], s[6:7], v[0:1]
	v_rcp_f64_e32 v[12:13], v[10:11]
	v_fma_f64 v[14:15], -v[10:11], v[12:13], 1.0
	v_fma_f64 v[12:13], v[12:13], v[14:15], v[12:13]
	v_fma_f64 v[14:15], -v[10:11], v[12:13], 1.0
	v_fma_f64 v[12:13], v[12:13], v[14:15], v[12:13]
	v_div_scale_f64 v[14:15], vcc, v[2:3], s[6:7], v[2:3]
	v_mul_f64 v[16:17], v[14:15], v[12:13]
	v_fma_f64 v[10:11], -v[10:11], v[16:17], v[14:15]
	s_nop 1
	v_div_fmas_f64 v[10:11], v[10:11], v[12:13], v[16:17]
	v_div_fixup_f64 v[10:11], v[10:11], s[6:7], v[2:3]
	s_movk_i32 s6, 0x204
	v_cmp_class_f64_e64 s[8:9], v[8:9], s6
	v_max_f64 v[12:13], |v[8:9]|, |v[10:11]|
	v_cmp_class_f64_e64 s[14:15], v[10:11], s6
	v_frexp_exp_i32_f64_e32 v20, v[12:13]
	v_sub_u32_e32 v14, 0, v20
	v_ldexp_f64 v[12:13], |v[8:9]|, v14
	v_ldexp_f64 v[14:15], |v[10:11]|, v14
	v_mul_f64 v[14:15], v[14:15], v[14:15]
	v_fma_f64 v[12:13], v[12:13], v[12:13], v[14:15]
	v_rsq_f64_e32 v[14:15], v[12:13]
	v_cmp_eq_f64_e32 vcc, 0, v[12:13]
	v_mul_f64 v[16:17], v[12:13], v[14:15]
	v_mul_f64 v[14:15], v[14:15], 0.5
	v_fma_f64 v[18:19], -v[14:15], v[16:17], 0.5
	v_fma_f64 v[16:17], v[16:17], v[18:19], v[16:17]
	v_fma_f64 v[14:15], v[14:15], v[18:19], v[14:15]
	v_fma_f64 v[18:19], -v[16:17], v[16:17], v[12:13]
	v_fma_f64 v[14:15], v[18:19], v[14:15], v[16:17]
	v_cndmask_b32_e32 v13, v15, v13, vcc
	v_cndmask_b32_e32 v12, v14, v12, vcc
	v_ldexp_f64 v[12:13], v[12:13], v20
	v_cmp_o_f64_e32 vcc, v[8:9], v[10:11]
	v_mov_b32_e32 v8, 0x7ff00000
	v_cndmask_b32_e32 v12, 0, v12, vcc
	v_cndmask_b32_e32 v13, v25, v13, vcc
	s_or_b64 vcc, s[8:9], s[14:15]
	v_cndmask_b32_e32 v10, v13, v8, vcc
	v_cndmask_b32_e64 v9, v12, 0, vcc
	v_frexp_mant_f64_e32 v[11:12], v[9:10]
	s_mov_b32 s9, 0x3fe55555
	s_mov_b32 s8, 0x55555555
	;; [unrolled: 1-line block ×4, first 2 shown]
	v_frexp_exp_i32_f64_e32 v8, v[9:10]
	v_cmp_gt_f64_e32 vcc, s[8:9], v[11:12]
	s_mov_b32 s8, 0x55555780
	v_cndmask_b32_e64 v13, 0, 1, vcc
	v_ldexp_f64 v[11:12], v[11:12], v13
	v_subbrev_co_u32_e32 v8, vcc, 0, v8, vcc
	v_cmp_class_f64_e64 vcc, v[9:10], s6
	v_add_f64 v[15:16], v[11:12], 1.0
	v_add_f64 v[13:14], v[11:12], -1.0
	v_add_f64 v[17:18], v[15:16], -1.0
	v_add_f64 v[11:12], v[11:12], -v[17:18]
	v_rcp_f64_e32 v[17:18], v[15:16]
	v_fma_f64 v[19:20], -v[15:16], v[17:18], 1.0
	v_fma_f64 v[17:18], v[19:20], v[17:18], v[17:18]
	v_fma_f64 v[19:20], -v[15:16], v[17:18], 1.0
	v_fma_f64 v[17:18], v[19:20], v[17:18], v[17:18]
	v_mul_f64 v[19:20], v[13:14], v[17:18]
	v_mul_f64 v[21:22], v[15:16], v[19:20]
	v_fma_f64 v[15:16], v[19:20], v[15:16], -v[21:22]
	v_fma_f64 v[11:12], v[19:20], v[11:12], v[15:16]
	v_add_f64 v[15:16], v[21:22], v[11:12]
	v_add_f64 v[23:24], v[13:14], -v[15:16]
	v_add_f64 v[21:22], v[15:16], -v[21:22]
	;; [unrolled: 1-line block ×5, first 2 shown]
	v_add_f64 v[11:12], v[11:12], v[13:14]
	v_add_f64 v[11:12], v[23:24], v[11:12]
	v_mul_f64 v[11:12], v[17:18], v[11:12]
	v_mov_b32_e32 v17, 0x6b47b09a
	v_mov_b32_e32 v18, 0x3fc38538
	v_add_f64 v[13:14], v[19:20], v[11:12]
	v_add_f64 v[15:16], v[13:14], -v[19:20]
	v_ldexp_f64 v[19:20], v[13:14], 1
	v_add_f64 v[11:12], v[11:12], -v[15:16]
	v_mul_f64 v[15:16], v[13:14], v[13:14]
	v_ldexp_f64 v[11:12], v[11:12], 1
	v_fma_f64 v[17:18], v[15:16], s[14:15], v[17:18]
	s_mov_b32 s14, 0xd7f4df2e
	s_mov_b32 s15, 0x3fc7474d
	v_mul_f64 v[13:14], v[13:14], v[15:16]
	v_fma_f64 v[17:18], v[15:16], v[17:18], s[14:15]
	s_mov_b32 s14, 0x16291751
	s_mov_b32 s15, 0x3fcc71c0
	v_fma_f64 v[17:18], v[15:16], v[17:18], s[14:15]
	s_mov_b32 s14, 0x9b27acf1
	s_mov_b32 s15, 0x3fd24924
	;; [unrolled: 3-line block ×5, first 2 shown]
	v_mul_f64 v[13:14], v[13:14], v[17:18]
	v_add_f64 v[15:16], v[19:20], v[13:14]
	v_add_f64 v[17:18], v[15:16], -v[19:20]
	v_add_f64 v[13:14], v[13:14], -v[17:18]
	v_add_f64 v[11:12], v[11:12], v[13:14]
	v_add_f64 v[13:14], v[15:16], v[11:12]
	v_add_f64 v[15:16], v[13:14], -v[15:16]
	v_add_f64 v[11:12], v[11:12], -v[15:16]
	v_cvt_f64_i32_e32 v[15:16], v8
	v_mul_f64 v[17:18], v[15:16], s[8:9]
	v_fma_f64 v[19:20], v[15:16], s[8:9], -v[17:18]
	s_mov_b32 s8, 0x3b39803f
	s_mov_b32 s9, 0x3c7abc9e
	v_fma_f64 v[15:16], v[15:16], s[8:9], v[19:20]
	v_add_f64 v[19:20], v[17:18], v[15:16]
	v_add_f64 v[17:18], v[19:20], -v[17:18]
	v_add_f64 v[15:16], v[15:16], -v[17:18]
	v_add_f64 v[17:18], v[19:20], v[13:14]
	v_add_f64 v[21:22], v[17:18], -v[19:20]
	v_add_f64 v[23:24], v[17:18], -v[21:22]
	;; [unrolled: 1-line block ×4, first 2 shown]
	v_add_f64 v[13:14], v[13:14], v[19:20]
	v_add_f64 v[19:20], v[15:16], v[11:12]
	v_add_f64 v[21:22], v[19:20], -v[15:16]
	v_add_f64 v[13:14], v[19:20], v[13:14]
	v_add_f64 v[23:24], v[19:20], -v[21:22]
	v_add_f64 v[11:12], v[11:12], -v[21:22]
	;; [unrolled: 1-line block ×3, first 2 shown]
	v_add_f64 v[11:12], v[11:12], v[15:16]
	v_add_f64 v[15:16], v[17:18], v[13:14]
	v_add_f64 v[17:18], v[15:16], -v[17:18]
	v_add_f64 v[13:14], v[13:14], -v[17:18]
	v_add_f64 v[11:12], v[11:12], v[13:14]
	v_add_f64 v[11:12], v[15:16], v[11:12]
	v_cndmask_b32_e32 v12, v12, v10, vcc
	v_cndmask_b32_e32 v11, v11, v9, vcc
	v_add_f64 v[11:12], v[11:12], 1.0
	v_cmp_ngt_f64_e32 vcc, 0, v[9:10]
	v_cndmask_b32_e32 v12, v25, v12, vcc
	v_cmp_nge_f64_e32 vcc, 0, v[9:10]
	v_cndmask_b32_e32 v8, 0, v11, vcc
	v_cmp_neq_f64_e32 vcc, 0, v[9:10]
	v_mov_b32_e32 v9, 0xfff00000
	v_max_f64 v[10:11], |v[2:3]|, |v[2:3]|
	v_cndmask_b32_e32 v9, v9, v12, vcc
	v_max_f64 v[12:13], |v[0:1]|, |v[0:1]|
	v_max_f64 v[14:15], v[12:13], v[10:11]
	v_min_f64 v[10:11], v[12:13], v[10:11]
	v_div_scale_f64 v[12:13], s[8:9], v[14:15], v[14:15], v[10:11]
	s_mov_b32 s8, 0xb5e68a13
	s_mov_b32 s9, 0x3eeba404
	v_rcp_f64_e32 v[16:17], v[12:13]
	v_fma_f64 v[18:19], -v[12:13], v[16:17], 1.0
	v_fma_f64 v[16:17], v[16:17], v[18:19], v[16:17]
	v_fma_f64 v[18:19], -v[12:13], v[16:17], 1.0
	v_fma_f64 v[16:17], v[16:17], v[18:19], v[16:17]
	v_div_scale_f64 v[18:19], vcc, v[10:11], v[14:15], v[10:11]
	v_mul_f64 v[20:21], v[18:19], v[16:17]
	v_fma_f64 v[12:13], -v[12:13], v[20:21], v[18:19]
	s_nop 1
	v_div_fmas_f64 v[12:13], v[12:13], v[16:17], v[20:21]
	v_div_fixup_f64 v[10:11], v[12:13], v[14:15], v[10:11]
	v_mov_b32_e32 v14, 0xbd3237f4
	v_mov_b32_e32 v15, 0xbf23e260
	v_mul_f64 v[12:13], v[10:11], v[10:11]
	v_fma_f64 v[14:15], v[12:13], s[8:9], v[14:15]
	s_mov_b32 s8, 0x69efb384
	s_mov_b32 s9, 0x3f4b2bb0
	v_fma_f64 v[14:15], v[12:13], v[14:15], s[8:9]
	s_mov_b32 s8, 0xaf56de9b
	s_mov_b32 s9, 0xbf67952d
	;; [unrolled: 3-line block ×18, first 2 shown]
	v_fma_f64 v[14:15], v[12:13], v[14:15], s[8:9]
	v_cmp_class_f64_e64 s[8:9], v[2:3], s6
	v_cmp_class_f64_e64 s[6:7], v[0:1], s6
	v_mov_b32_e32 v0, 0x54442d18
	v_mul_f64 v[12:13], v[12:13], v[14:15]
	s_and_b64 vcc, s[6:7], s[8:9]
	v_cmp_gt_i32_e64 s[6:7], 0, v1
	s_brev_b32 s8, -2
	v_fma_f64 v[10:11], v[10:11], v[12:13], v[10:11]
	v_mov_b32_e32 v12, 0x7f3321d2
	v_cndmask_b32_e64 v12, v0, v12, s[6:7]
	v_mov_b32_e32 v0, 0x3fe921fb
	v_mov_b32_e32 v13, 0x4002d97c
	v_cndmask_b32_e64 v0, v0, v13, s[6:7]
	v_bfi_b32 v13, s8, v0, v3
	v_ashrrev_i32_e32 v0, 31, v1
	v_and_b32_e32 v14, 0x400921fb, v0
	v_and_b32_e32 v15, 0x54442d18, v0
	v_add_f64 v[0:1], -v[10:11], s[14:15]
	s_mov_b32 s15, s16
	v_cmp_eq_f64_e64 s[8:9], 0, v[2:3]
	v_cndmask_b32_e64 v1, v11, v1, s[4:5]
	v_cndmask_b32_e64 v0, v10, v0, s[4:5]
	v_add_f64 v[10:11], -v[0:1], s[14:15]
	v_cndmask_b32_e64 v1, v1, v11, s[6:7]
	v_cndmask_b32_e64 v0, v0, v10, s[6:7]
	v_cndmask_b32_e64 v0, v0, v15, s[8:9]
	v_cndmask_b32_e64 v1, v1, v14, s[8:9]
	v_cndmask_b32_e32 v13, v1, v13, vcc
	v_cndmask_b32_e32 v12, v0, v12, vcc
.LBB36_27:
	s_or_b64 exec, exec, s[10:11]
                                        ; implicit-def: $vgpr0_vgpr1
.LBB36_28:
	s_andn2_saveexec_b64 s[4:5], s[12:13]
	s_cbranch_execz .LBB36_34
; %bb.29:
	s_mov_b32 s6, 0
	s_brev_b32 s7, 4
	v_cmp_nlt_f64_e64 s[8:9], |v[0:1]|, s[6:7]
	v_cmp_nlt_f64_e64 s[6:7], |v[2:3]|, s[6:7]
                                        ; implicit-def: $vgpr9_vgpr10
	s_or_b64 s[6:7], s[8:9], s[6:7]
	s_and_saveexec_b64 s[8:9], s[6:7]
	s_xor_b64 s[6:7], exec, s[8:9]
	s_cbranch_execz .LBB36_31
; %bb.30:
	v_mul_f64 v[8:9], v[2:3], v[2:3]
	v_fma_f64 v[9:10], v[0:1], v[0:1], v[8:9]
                                        ; implicit-def: $vgpr0_vgpr1
.LBB36_31:
	s_andn2_saveexec_b64 s[6:7], s[6:7]
	s_cbranch_execz .LBB36_33
; %bb.32:
	v_mul_f64 v[8:9], v[2:3], 4.0
	v_mul_f64 v[0:1], v[0:1], 4.0
	v_mul_f64 v[8:9], v[8:9], v[8:9]
	v_fma_f64 v[0:1], v[0:1], v[0:1], v[8:9]
	v_ldexp_f64 v[9:10], v[0:1], -4
.LBB36_33:
	s_or_b64 exec, exec, s[6:7]
	v_frexp_mant_f64_e32 v[0:1], v[9:10]
	s_mov_b32 s7, 0x3fe55555
	s_mov_b32 s6, 0x55555555
	;; [unrolled: 1-line block ×4, first 2 shown]
	v_frexp_exp_i32_f64_e32 v2, v[9:10]
	v_cmp_gt_f64_e32 vcc, s[6:7], v[0:1]
	s_mov_b32 s6, 0x55555780
	v_cndmask_b32_e64 v8, 0, 1, vcc
	v_ldexp_f64 v[0:1], v[0:1], v8
	v_subbrev_co_u32_e32 v2, vcc, 0, v2, vcc
	v_add_f64 v[13:14], v[0:1], 1.0
	v_add_f64 v[11:12], v[0:1], -1.0
	v_add_f64 v[15:16], v[13:14], -1.0
	v_add_f64 v[0:1], v[0:1], -v[15:16]
	v_rcp_f64_e32 v[15:16], v[13:14]
	v_fma_f64 v[17:18], -v[13:14], v[15:16], 1.0
	v_fma_f64 v[15:16], v[17:18], v[15:16], v[15:16]
	v_fma_f64 v[17:18], -v[13:14], v[15:16], 1.0
	v_fma_f64 v[15:16], v[17:18], v[15:16], v[15:16]
	v_mul_f64 v[17:18], v[11:12], v[15:16]
	v_mul_f64 v[19:20], v[13:14], v[17:18]
	v_fma_f64 v[13:14], v[17:18], v[13:14], -v[19:20]
	v_fma_f64 v[0:1], v[17:18], v[0:1], v[13:14]
	v_add_f64 v[13:14], v[19:20], v[0:1]
	v_add_f64 v[21:22], v[11:12], -v[13:14]
	v_add_f64 v[19:20], v[13:14], -v[19:20]
	;; [unrolled: 1-line block ×5, first 2 shown]
	v_add_f64 v[0:1], v[0:1], v[11:12]
	v_add_f64 v[0:1], v[21:22], v[0:1]
	v_mul_f64 v[0:1], v[15:16], v[0:1]
	v_mov_b32_e32 v15, 0x6b47b09a
	v_mov_b32_e32 v16, 0x3fc38538
	v_add_f64 v[11:12], v[17:18], v[0:1]
	v_add_f64 v[13:14], v[11:12], -v[17:18]
	v_ldexp_f64 v[17:18], v[11:12], 1
	v_add_f64 v[0:1], v[0:1], -v[13:14]
	v_mul_f64 v[13:14], v[11:12], v[11:12]
	v_ldexp_f64 v[0:1], v[0:1], 1
	v_fma_f64 v[15:16], v[13:14], s[8:9], v[15:16]
	s_mov_b32 s8, 0xd7f4df2e
	s_mov_b32 s9, 0x3fc7474d
	v_mul_f64 v[11:12], v[11:12], v[13:14]
	v_fma_f64 v[15:16], v[13:14], v[15:16], s[8:9]
	s_mov_b32 s8, 0x16291751
	s_mov_b32 s9, 0x3fcc71c0
	v_fma_f64 v[15:16], v[13:14], v[15:16], s[8:9]
	s_mov_b32 s8, 0x9b27acf1
	s_mov_b32 s9, 0x3fd24924
	v_fma_f64 v[15:16], v[13:14], v[15:16], s[8:9]
	s_mov_b32 s8, 0x998ef7b6
	s_mov_b32 s9, 0x3fd99999
	v_fma_f64 v[15:16], v[13:14], v[15:16], s[8:9]
	v_fma_f64 v[15:16], v[13:14], v[15:16], s[6:7]
	s_mov_b32 s6, 0xfefa39ef
	s_mov_b32 s7, 0x3fe62e42
	v_mul_f64 v[11:12], v[11:12], v[15:16]
	v_add_f64 v[13:14], v[17:18], v[11:12]
	v_add_f64 v[15:16], v[13:14], -v[17:18]
	v_add_f64 v[11:12], v[11:12], -v[15:16]
	v_add_f64 v[0:1], v[0:1], v[11:12]
	v_add_f64 v[11:12], v[13:14], v[0:1]
	v_add_f64 v[13:14], v[11:12], -v[13:14]
	v_add_f64 v[0:1], v[0:1], -v[13:14]
	v_cvt_f64_i32_e32 v[13:14], v2
	v_mov_b32_e32 v2, 0x7ff80000
	v_mul_f64 v[15:16], v[13:14], s[6:7]
	v_fma_f64 v[17:18], v[13:14], s[6:7], -v[15:16]
	s_mov_b32 s6, 0x3b39803f
	s_mov_b32 s7, 0x3c7abc9e
	v_fma_f64 v[13:14], v[13:14], s[6:7], v[17:18]
	s_movk_i32 s6, 0x204
	v_cmp_class_f64_e64 vcc, v[9:10], s6
	v_add_f64 v[17:18], v[15:16], v[13:14]
	v_add_f64 v[15:16], v[17:18], -v[15:16]
	v_add_f64 v[13:14], v[13:14], -v[15:16]
	v_add_f64 v[15:16], v[17:18], v[11:12]
	v_add_f64 v[19:20], v[15:16], -v[17:18]
	v_add_f64 v[21:22], v[15:16], -v[19:20]
	;; [unrolled: 1-line block ×4, first 2 shown]
	v_add_f64 v[11:12], v[11:12], v[17:18]
	v_add_f64 v[17:18], v[13:14], v[0:1]
	v_add_f64 v[19:20], v[17:18], -v[13:14]
	v_add_f64 v[11:12], v[17:18], v[11:12]
	v_add_f64 v[21:22], v[17:18], -v[19:20]
	v_add_f64 v[0:1], v[0:1], -v[19:20]
	;; [unrolled: 1-line block ×3, first 2 shown]
	v_add_f64 v[0:1], v[0:1], v[13:14]
	v_add_f64 v[13:14], v[15:16], v[11:12]
	v_add_f64 v[15:16], v[13:14], -v[15:16]
	v_add_f64 v[11:12], v[11:12], -v[15:16]
	v_add_f64 v[0:1], v[0:1], v[11:12]
	v_add_f64 v[0:1], v[13:14], v[0:1]
	v_mov_b32_e32 v12, 0
	v_mov_b32_e32 v13, 0x7ff80000
	v_cndmask_b32_e32 v0, v0, v9, vcc
	v_cndmask_b32_e32 v1, v1, v10, vcc
	v_cmp_ngt_f64_e32 vcc, 0, v[9:10]
	v_cndmask_b32_e32 v1, v2, v1, vcc
	v_cmp_nge_f64_e32 vcc, 0, v[9:10]
	v_cndmask_b32_e32 v8, 0, v0, vcc
	v_cmp_neq_f64_e32 vcc, 0, v[9:10]
	v_mov_b32_e32 v0, 0xfff00000
	v_cndmask_b32_e32 v9, v0, v1, vcc
.LBB36_34:
	s_or_b64 exec, exec, s[4:5]
	v_mul_f64 v[0:1], v[6:7], v[8:9]
	s_brev_b32 s4, -2
	v_bfi_b32 v13, s4, v13, v3
	v_mul_f64 v[6:7], v[6:7], v[12:13]
	v_fma_f64 v[2:3], v[4:5], v[12:13], v[0:1]
	v_fma_f64 v[4:5], v[4:5], v[8:9], -v[6:7]
	v_and_b32_e32 v7, 0x7fffffff, v3
	v_or_b32_e32 v0, v7, v2
	v_cmp_ne_u32_e32 vcc, 0, v0
                                        ; implicit-def: $vgpr0_vgpr1
	s_and_saveexec_b64 s[4:5], vcc
	s_xor_b64 s[10:11], exec, s[4:5]
	s_cbranch_execz .LBB36_40
; %bb.35:
	v_and_b32_e32 v6, 0x7fffffff, v5
	v_or_b32_e32 v0, v6, v4
	v_cmp_ne_u32_e32 vcc, 0, v0
                                        ; implicit-def: $vgpr0_vgpr1
	s_and_saveexec_b64 s[4:5], vcc
	s_xor_b64 s[12:13], exec, s[4:5]
	s_cbranch_execz .LBB36_67
; %bb.36:
	s_mov_b32 s4, 0x7ff00000
	v_cmp_gt_u32_e32 vcc, s4, v7
                                        ; implicit-def: $vgpr0_vgpr1
	s_and_saveexec_b64 s[4:5], vcc
	s_xor_b64 s[14:15], exec, s[4:5]
	s_cbranch_execz .LBB36_60
; %bb.37:
	v_add_u32_e32 v0, 0xbf79d1be, v5
	s_mov_b32 s4, 0x108aa2
	v_cmp_lt_u32_e32 vcc, s4, v0
                                        ; implicit-def: $vgpr0_vgpr1
	s_and_saveexec_b64 s[4:5], vcc
	s_xor_b64 s[6:7], exec, s[4:5]
	s_cbranch_execz .LBB36_49
; %bb.38:
	s_mov_b32 s4, 0
	s_mov_b32 s5, 0x41d00000
	v_cmp_nlt_f64_e64 s[8:9], |v[2:3]|, s[4:5]
                                        ; implicit-def: $vgpr12
                                        ; implicit-def: $vgpr0_vgpr1
                                        ; implicit-def: $vgpr6_vgpr7
	s_and_saveexec_b64 s[4:5], s[8:9]
	s_xor_b64 s[16:17], exec, s[4:5]
	s_cbranch_execz .LBB36_42
; %bb.39:
	v_trig_preop_f64 v[0:1], |v[2:3]|, 0
	s_mov_b32 s4, 0
	s_mov_b32 s5, 0x7b000000
	s_movk_i32 s18, 0xff80
	v_ldexp_f64 v[8:9], |v[2:3]|, s18
	v_cmp_ge_f64_e64 vcc, |v[2:3]|, s[4:5]
	v_trig_preop_f64 v[6:7], |v[2:3]|, 1
	v_and_b32_e32 v10, 0x7fffffff, v3
	v_trig_preop_f64 v[16:17], |v[2:3]|, 2
	s_mov_b32 s4, 0
	s_mov_b32 s5, 0x7ff00000
	v_mov_b32_e32 v27, 0x40100000
	v_mov_b32_e32 v26, 0
	v_cndmask_b32_e32 v9, v10, v9, vcc
	v_cndmask_b32_e32 v8, v2, v8, vcc
	s_mov_b32 s18, 0x33145c07
	v_mul_f64 v[10:11], v[0:1], v[8:9]
	s_mov_b32 s19, 0x3c91a626
	v_mul_f64 v[12:13], v[6:7], v[8:9]
	v_mul_f64 v[22:23], v[16:17], v[8:9]
	v_fma_f64 v[0:1], v[0:1], v[8:9], -v[10:11]
	v_fma_f64 v[6:7], v[6:7], v[8:9], -v[12:13]
	v_fma_f64 v[8:9], v[16:17], v[8:9], -v[22:23]
	v_add_f64 v[14:15], v[12:13], v[0:1]
	v_add_f64 v[18:19], v[14:15], -v[12:13]
	v_add_f64 v[24:25], v[10:11], v[14:15]
	v_add_f64 v[20:21], v[14:15], -v[18:19]
	v_add_f64 v[0:1], v[0:1], -v[18:19]
	v_add_f64 v[18:19], v[22:23], v[6:7]
	v_add_f64 v[10:11], v[24:25], -v[10:11]
	v_add_f64 v[12:13], v[12:13], -v[20:21]
	v_ldexp_f64 v[20:21], v[24:25], -2
	v_add_f64 v[28:29], v[18:19], -v[22:23]
	v_add_f64 v[10:11], v[14:15], -v[10:11]
	v_add_f64 v[0:1], v[0:1], v[12:13]
	v_fract_f64_e32 v[12:13], v[20:21]
	v_cmp_neq_f64_e64 vcc, |v[20:21]|, s[4:5]
	v_add_f64 v[6:7], v[6:7], -v[28:29]
	v_add_f64 v[14:15], v[18:19], v[0:1]
	v_ldexp_f64 v[12:13], v[12:13], 2
	v_add_f64 v[20:21], v[10:11], v[14:15]
	v_cndmask_b32_e32 v13, 0, v13, vcc
	v_cndmask_b32_e32 v12, 0, v12, vcc
	v_add_f64 v[30:31], v[14:15], -v[18:19]
	v_add_f64 v[24:25], v[20:21], v[12:13]
	v_add_f64 v[10:11], v[20:21], -v[10:11]
	v_add_f64 v[32:33], v[14:15], -v[30:31]
	;; [unrolled: 1-line block ×3, first 2 shown]
	v_cmp_gt_f64_e32 vcc, 0, v[24:25]
	v_add_f64 v[24:25], v[18:19], -v[28:29]
	v_add_f64 v[10:11], v[14:15], -v[10:11]
	;; [unrolled: 1-line block ×3, first 2 shown]
	v_cndmask_b32_e32 v27, 0, v27, vcc
	v_add_f64 v[12:13], v[12:13], v[26:27]
	v_add_f64 v[24:25], v[22:23], -v[24:25]
	v_add_f64 v[0:1], v[0:1], v[18:19]
	v_add_f64 v[27:28], v[20:21], v[12:13]
	;; [unrolled: 1-line block ×3, first 2 shown]
	v_cvt_i32_f64_e32 v29, v[27:28]
	v_add_f64 v[0:1], v[6:7], v[0:1]
	v_cvt_f64_i32_e32 v[27:28], v29
	v_add_f64 v[12:13], v[12:13], -v[27:28]
	v_add_f64 v[0:1], v[8:9], v[0:1]
	v_add_f64 v[6:7], v[20:21], v[12:13]
	;; [unrolled: 1-line block ×3, first 2 shown]
	v_mov_b32_e32 v10, 0x3ff00000
	v_add_f64 v[8:9], v[6:7], -v[12:13]
	v_cmp_le_f64_e32 vcc, 0.5, v[6:7]
	v_add_f64 v[8:9], v[20:21], -v[8:9]
	v_cndmask_b32_e32 v27, 0, v10, vcc
	v_add_f64 v[6:7], v[6:7], -v[26:27]
	v_addc_co_u32_e64 v12, s[4:5], 0, v29, vcc
	s_mov_b32 s4, 0x54442d18
	s_mov_b32 s5, 0x3ff921fb
	v_add_f64 v[0:1], v[0:1], v[8:9]
	v_add_f64 v[8:9], v[6:7], v[0:1]
	v_mul_f64 v[10:11], v[8:9], s[4:5]
	v_add_f64 v[6:7], v[8:9], -v[6:7]
	v_fma_f64 v[13:14], v[8:9], s[4:5], -v[10:11]
	v_add_f64 v[0:1], v[0:1], -v[6:7]
	v_fma_f64 v[6:7], v[8:9], s[18:19], v[13:14]
	v_fma_f64 v[6:7], v[0:1], s[4:5], v[6:7]
	v_add_f64 v[0:1], v[10:11], v[6:7]
	v_add_f64 v[8:9], v[0:1], -v[10:11]
	v_add_f64 v[6:7], v[6:7], -v[8:9]
	s_andn2_saveexec_b64 s[4:5], s[16:17]
	s_cbranch_execz .LBB36_44
	s_branch .LBB36_43
.LBB36_40:
	s_andn2_saveexec_b64 s[6:7], s[10:11]
	s_cbranch_execz .LBB36_78
.LBB36_41:
	s_mov_b32 s4, 0x652b82fe
	s_mov_b32 s5, 0x3ff71547
	v_mul_f64 v[0:1], v[4:5], s[4:5]
	s_mov_b32 s4, 0xfefa39ef
	s_mov_b32 s5, 0xbfe62e42
	v_mov_b32_e32 v8, 0xfca7ab0c
	v_mov_b32_e32 v9, 0x3e928af3
	s_mov_b32 s8, 0
	s_mov_b32 s9, 0xc090cc00
	v_rndne_f64_e32 v[0:1], v[0:1]
	v_fma_f64 v[6:7], v[0:1], s[4:5], v[4:5]
	s_mov_b32 s4, 0x3b39803f
	s_mov_b32 s5, 0xbc7abc9e
	v_fma_f64 v[6:7], v[0:1], s[4:5], v[6:7]
	s_mov_b32 s4, 0x6a5dcb37
	s_mov_b32 s5, 0x3e5ade15
	v_cvt_i32_f64_e32 v0, v[0:1]
	v_fma_f64 v[8:9], v[6:7], s[4:5], v[8:9]
	s_mov_b32 s4, 0x623fde64
	s_mov_b32 s5, 0x3ec71dee
	v_fma_f64 v[8:9], v[6:7], v[8:9], s[4:5]
	s_mov_b32 s4, 0x7c89e6b0
	s_mov_b32 s5, 0x3efa0199
	;; [unrolled: 3-line block ×9, first 2 shown]
	v_cmp_nlt_f64_e32 vcc, s[4:5], v[4:5]
	v_cmp_ngt_f64_e64 s[4:5], s[8:9], v[4:5]
	v_fma_f64 v[8:9], v[6:7], v[8:9], 1.0
	v_fma_f64 v[6:7], v[6:7], v[8:9], 1.0
	v_ldexp_f64 v[0:1], v[6:7], v0
	v_mov_b32_e32 v6, 0x7ff00000
	v_cndmask_b32_e32 v1, v6, v1, vcc
	s_and_b64 vcc, s[4:5], vcc
	v_cndmask_b32_e64 v1, 0, v1, s[4:5]
	v_cndmask_b32_e32 v0, 0, v0, vcc
	s_or_b64 exec, exec, s[6:7]
	s_setpc_b64 s[30:31]
.LBB36_42:
	s_andn2_saveexec_b64 s[4:5], s[16:17]
	s_cbranch_execz .LBB36_44
.LBB36_43:
	s_mov_b32 s16, 0x6dc9c883
	s_mov_b32 s17, 0x3fe45f30
	v_mul_f64 v[0:1], |v[2:3]|, s[16:17]
	s_mov_b32 s16, 0x54442d18
	s_mov_b32 s17, 0xbff921fb
	;; [unrolled: 1-line block ×4, first 2 shown]
	v_rndne_f64_e32 v[8:9], v[0:1]
	v_fma_f64 v[0:1], v[8:9], s[16:17], |v[2:3]|
	v_mul_f64 v[6:7], v[8:9], s[18:19]
	s_mov_b32 s16, 0x252049c0
	s_mov_b32 s17, 0xb97b839a
	v_fma_f64 v[14:15], v[8:9], s[18:19], v[0:1]
	v_add_f64 v[10:11], v[0:1], v[6:7]
	s_mov_b32 s19, 0x3c91a626
	v_add_f64 v[12:13], v[0:1], -v[10:11]
	v_add_f64 v[10:11], v[10:11], -v[14:15]
	v_add_f64 v[0:1], v[12:13], v[6:7]
	v_fma_f64 v[6:7], v[8:9], s[18:19], v[6:7]
	v_cvt_i32_f64_e32 v12, v[8:9]
	v_add_f64 v[0:1], v[10:11], v[0:1]
	v_add_f64 v[0:1], v[0:1], -v[6:7]
	v_fma_f64 v[6:7], v[8:9], s[16:17], v[0:1]
	v_add_f64 v[0:1], v[14:15], v[6:7]
	v_add_f64 v[10:11], v[0:1], -v[14:15]
	v_add_f64 v[6:7], v[6:7], -v[10:11]
.LBB36_44:
	s_or_b64 exec, exec, s[4:5]
                                        ; implicit-def: $vgpr13
                                        ; implicit-def: $vgpr8_vgpr9
                                        ; implicit-def: $vgpr10_vgpr11
	s_and_saveexec_b64 s[4:5], s[8:9]
	s_xor_b64 s[8:9], exec, s[4:5]
	s_cbranch_execz .LBB36_46
; %bb.45:
	v_trig_preop_f64 v[8:9], |v[2:3]|, 0
	s_mov_b32 s4, 0
	s_mov_b32 s5, 0x7b000000
	v_cmp_ge_f64_e64 vcc, |v[2:3]|, s[4:5]
	s_movk_i32 s4, 0xff80
	v_ldexp_f64 v[13:14], |v[2:3]|, s4
	v_trig_preop_f64 v[10:11], |v[2:3]|, 1
	v_and_b32_e32 v15, 0x7fffffff, v3
	s_mov_b32 s4, 0
	s_mov_b32 s5, 0x7ff00000
	;; [unrolled: 1-line block ×4, first 2 shown]
	v_cndmask_b32_e32 v14, v15, v14, vcc
	v_cndmask_b32_e32 v13, v2, v13, vcc
	v_mul_f64 v[17:18], v[8:9], v[13:14]
	v_mul_f64 v[15:16], v[10:11], v[13:14]
	v_fma_f64 v[8:9], v[8:9], v[13:14], -v[17:18]
	v_fma_f64 v[10:11], v[10:11], v[13:14], -v[15:16]
	v_add_f64 v[19:20], v[15:16], v[8:9]
	v_add_f64 v[27:28], v[19:20], -v[15:16]
	v_add_f64 v[21:22], v[17:18], v[19:20]
	v_add_f64 v[8:9], v[8:9], -v[27:28]
	v_add_f64 v[27:28], v[19:20], -v[27:28]
	v_ldexp_f64 v[23:24], v[21:22], -2
	v_add_f64 v[17:18], v[21:22], -v[17:18]
	v_add_f64 v[27:28], v[15:16], -v[27:28]
	v_trig_preop_f64 v[15:16], |v[2:3]|, 2
	v_fract_f64_e32 v[25:26], v[23:24]
	v_add_f64 v[17:18], v[19:20], -v[17:18]
	v_cmp_neq_f64_e64 vcc, |v[23:24]|, s[4:5]
	v_add_f64 v[8:9], v[8:9], v[27:28]
	v_mul_f64 v[27:28], v[15:16], v[13:14]
	v_add_f64 v[29:30], v[27:28], v[10:11]
	v_add_f64 v[31:32], v[29:30], v[8:9]
	v_add_f64 v[21:22], v[31:32], -v[29:30]
	v_add_f64 v[19:20], v[17:18], v[31:32]
	v_add_f64 v[8:9], v[8:9], -v[21:22]
	v_add_f64 v[21:22], v[31:32], -v[21:22]
	;; [unrolled: 1-line block ×5, first 2 shown]
	v_add_f64 v[8:9], v[8:9], v[21:22]
	v_add_f64 v[21:22], v[29:30], -v[27:28]
	v_add_f64 v[10:11], v[10:11], -v[21:22]
	v_add_f64 v[21:22], v[29:30], -v[21:22]
	v_add_f64 v[21:22], v[27:28], -v[21:22]
	v_add_f64 v[10:11], v[10:11], v[21:22]
	v_add_f64 v[8:9], v[10:11], v[8:9]
	v_fma_f64 v[10:11], v[15:16], v[13:14], -v[27:28]
	v_add_f64 v[8:9], v[10:11], v[8:9]
	v_ldexp_f64 v[10:11], v[25:26], 2
	v_add_f64 v[8:9], v[17:18], v[8:9]
	v_cndmask_b32_e32 v11, 0, v11, vcc
	v_cndmask_b32_e32 v10, 0, v10, vcc
	v_add_f64 v[13:14], v[19:20], v[10:11]
	v_cmp_gt_f64_e32 vcc, 0, v[13:14]
	v_mov_b32_e32 v13, 0x40100000
	v_mov_b32_e32 v14, 0
	v_cndmask_b32_e32 v15, 0, v13, vcc
	v_add_f64 v[10:11], v[10:11], v[14:15]
	v_add_f64 v[15:16], v[19:20], v[10:11]
	v_cvt_i32_f64_e32 v13, v[15:16]
	v_cvt_f64_i32_e32 v[15:16], v13
	v_add_f64 v[10:11], v[10:11], -v[15:16]
	v_add_f64 v[16:17], v[19:20], v[10:11]
	v_add_f64 v[10:11], v[16:17], -v[10:11]
	v_cmp_le_f64_e32 vcc, 0.5, v[16:17]
	v_add_f64 v[10:11], v[19:20], -v[10:11]
	v_addc_co_u32_e64 v13, s[4:5], 0, v13, vcc
	s_mov_b32 s4, 0x54442d18
	s_mov_b32 s5, 0x3ff921fb
	v_add_f64 v[8:9], v[8:9], v[10:11]
	v_mov_b32_e32 v10, 0x3ff00000
	v_cndmask_b32_e32 v15, 0, v10, vcc
	v_add_f64 v[10:11], v[16:17], -v[14:15]
	v_add_f64 v[14:15], v[10:11], v[8:9]
	v_add_f64 v[10:11], v[14:15], -v[10:11]
	v_add_f64 v[8:9], v[8:9], -v[10:11]
	v_mul_f64 v[10:11], v[14:15], s[4:5]
	v_fma_f64 v[16:17], v[14:15], s[4:5], -v[10:11]
	v_fma_f64 v[14:15], v[14:15], s[16:17], v[16:17]
	v_fma_f64 v[14:15], v[8:9], s[4:5], v[14:15]
	v_add_f64 v[8:9], v[10:11], v[14:15]
	v_add_f64 v[10:11], v[8:9], -v[10:11]
	v_add_f64 v[10:11], v[14:15], -v[10:11]
	s_andn2_saveexec_b64 s[4:5], s[8:9]
	s_cbranch_execnz .LBB36_47
	s_branch .LBB36_48
.LBB36_46:
	s_andn2_saveexec_b64 s[4:5], s[8:9]
	s_cbranch_execz .LBB36_48
.LBB36_47:
	s_mov_b32 s8, 0x6dc9c883
	s_mov_b32 s9, 0x3fe45f30
	v_mul_f64 v[8:9], |v[2:3]|, s[8:9]
	s_mov_b32 s8, 0x54442d18
	s_mov_b32 s9, 0xbff921fb
	;; [unrolled: 1-line block ×4, first 2 shown]
	v_rndne_f64_e32 v[13:14], v[8:9]
	v_fma_f64 v[8:9], v[13:14], s[8:9], |v[2:3]|
	v_mul_f64 v[10:11], v[13:14], s[16:17]
	s_mov_b32 s8, 0x252049c0
	s_mov_b32 s9, 0xb97b839a
	v_fma_f64 v[19:20], v[13:14], s[16:17], v[8:9]
	v_add_f64 v[15:16], v[8:9], v[10:11]
	s_mov_b32 s17, 0x3c91a626
	v_add_f64 v[17:18], v[8:9], -v[15:16]
	v_add_f64 v[15:16], v[15:16], -v[19:20]
	v_add_f64 v[8:9], v[17:18], v[10:11]
	v_fma_f64 v[10:11], v[13:14], s[16:17], v[10:11]
	v_add_f64 v[8:9], v[15:16], v[8:9]
	v_add_f64 v[8:9], v[8:9], -v[10:11]
	v_fma_f64 v[10:11], v[13:14], s[8:9], v[8:9]
	v_cvt_i32_f64_e32 v13, v[13:14]
	v_add_f64 v[8:9], v[19:20], v[10:11]
	v_add_f64 v[15:16], v[8:9], -v[19:20]
	v_add_f64 v[10:11], v[10:11], -v[15:16]
.LBB36_48:
	s_or_b64 exec, exec, s[4:5]
	s_mov_b32 s4, 0x652b82fe
	s_mov_b32 s5, 0x3ff71547
	v_mul_f64 v[14:15], v[4:5], s[4:5]
	s_mov_b32 s4, 0xfefa39ef
	s_mov_b32 s5, 0xbfe62e42
	v_mov_b32_e32 v18, 0xfca7ab0c
	v_mov_b32_e32 v19, 0x3e928af3
	s_mov_b32 s9, 0x3f811111
	s_mov_b32 s8, 0x11122322
	s_mov_b32 s17, 0x3fa55555
	v_rndne_f64_e32 v[14:15], v[14:15]
	s_mov_b32 s16, 0x555502a1
	s_mov_b32 s18, 0x9037ab78
	;; [unrolled: 1-line block ×3, first 2 shown]
	v_mov_b32_e32 v23, s19
	v_mov_b32_e32 v22, s18
	s_mov_b32 s18, 0xa17f65f6
	s_mov_b32 s19, 0xbe927e4f
	v_fma_f64 v[16:17], v[14:15], s[4:5], v[4:5]
	s_mov_b32 s4, 0x3b39803f
	s_mov_b32 s5, 0xbc7abc9e
	;; [unrolled: 1-line block ×7, first 2 shown]
	v_fma_f64 v[16:17], v[14:15], s[4:5], v[16:17]
	s_mov_b32 s4, 0x6a5dcb37
	s_mov_b32 s5, 0x3e5ade15
	v_cvt_i32_f64_e32 v14, v[14:15]
	s_mov_b32 s27, 0xbe5ae600
	s_mov_b32 s24, 0xf9a43bb8
	;; [unrolled: 1-line block ×4, first 2 shown]
	v_fma_f64 v[18:19], v[16:17], s[4:5], v[18:19]
	s_mov_b32 s4, 0x623fde64
	s_mov_b32 s5, 0x3ec71dee
	;; [unrolled: 1-line block ×5, first 2 shown]
	v_mul_f64 v[26:27], v[6:7], 0.5
	s_movk_i32 s42, 0x1f8
	v_fma_f64 v[18:19], v[16:17], v[18:19], s[4:5]
	s_mov_b32 s4, 0x7c89e6b0
	s_mov_b32 s5, 0x3efa0199
	v_fma_f64 v[18:19], v[16:17], v[18:19], s[4:5]
	s_mov_b32 s4, 0x14761f6e
	s_mov_b32 s5, 0x3f2a01a0
	;; [unrolled: 3-line block ×4, first 2 shown]
	v_fma_f64 v[18:19], v[16:17], v[18:19], s[8:9]
	s_mov_b32 s8, 0x11110bb3
	v_fma_f64 v[18:19], v[16:17], v[18:19], s[16:17]
	s_mov_b32 s16, 0x55555555
	;; [unrolled: 2-line block ×3, first 2 shown]
	s_mov_b32 s5, 0x3fe00000
	v_fma_f64 v[18:19], v[16:17], v[18:19], s[4:5]
	s_mov_b32 s4, 0
	s_mov_b32 s5, 0x40900000
	v_cmp_nlt_f64_e32 vcc, s[4:5], v[4:5]
	s_mov_b32 s4, 0
	s_mov_b32 s5, 0xc090cc00
	v_cmp_ngt_f64_e64 s[4:5], s[4:5], v[4:5]
	v_fma_f64 v[18:19], v[16:17], v[18:19], 1.0
	v_fma_f64 v[16:17], v[16:17], v[18:19], 1.0
	v_ldexp_f64 v[14:15], v[16:17], v14
	v_mov_b32_e32 v16, 0x7ff00000
	v_cndmask_b32_e32 v15, v16, v15, vcc
	s_and_b64 vcc, s[4:5], vcc
	v_cndmask_b32_e32 v4, 0, v14, vcc
	v_cndmask_b32_e64 v5, 0, v15, s[4:5]
	v_mul_f64 v[14:15], v[0:1], v[0:1]
	s_mov_b32 s4, 0x46cc5e42
	s_mov_b32 s5, 0xbda907db
	v_mul_f64 v[16:17], v[14:15], 0.5
	v_fma_f64 v[24:25], v[14:15], s[4:5], v[22:23]
	v_add_f64 v[18:19], -v[16:17], 1.0
	v_fma_f64 v[24:25], v[14:15], v[24:25], s[18:19]
	v_add_f64 v[20:21], -v[18:19], 1.0
	v_fma_f64 v[24:25], v[14:15], v[24:25], s[20:21]
	v_add_f64 v[16:17], v[20:21], -v[16:17]
	v_fma_f64 v[24:25], v[14:15], v[24:25], s[22:23]
	v_mul_f64 v[20:21], v[14:15], v[14:15]
	v_fma_f64 v[16:17], v[0:1], -v[6:7], v[16:17]
	v_fma_f64 v[24:25], v[14:15], v[24:25], s[16:17]
	v_fma_f64 v[16:17], v[20:21], v[24:25], v[16:17]
	v_mul_f64 v[24:25], v[0:1], -v[14:15]
	v_add_f64 v[16:17], v[18:19], v[16:17]
	v_mov_b32_e32 v18, s26
	v_mov_b32_e32 v19, s27
	v_fma_f64 v[20:21], v[14:15], s[24:25], v[18:19]
	s_mov_b32 s27, 0xbfc55555
	s_mov_b32 s26, s16
	v_fma_f64 v[20:21], v[14:15], v[20:21], s[28:29]
	v_fma_f64 v[20:21], v[14:15], v[20:21], s[40:41]
	;; [unrolled: 1-line block ×4, first 2 shown]
	v_fma_f64 v[6:7], v[14:15], v[20:21], -v[6:7]
	v_fma_f64 v[6:7], v[24:25], s[26:27], v[6:7]
	v_add_f64 v[0:1], v[0:1], -v[6:7]
	v_and_b32_e32 v6, 1, v12
	v_cmp_eq_u32_e32 vcc, 0, v6
	v_lshlrev_b32_e32 v6, 30, v12
	v_and_b32_e32 v6, 0x80000000, v6
	v_mov_b32_e32 v12, 0x7ff80000
	v_xor_b32_e32 v1, 0x80000000, v1
	v_cndmask_b32_e32 v1, v1, v17, vcc
	v_xor_b32_e32 v1, v1, v6
	v_mul_f64 v[6:7], v[8:9], v[8:9]
	v_cndmask_b32_e32 v0, v0, v16, vcc
	v_cmp_class_f64_e64 vcc, v[2:3], s42
	v_and_b32_e32 v2, 1, v13
	v_mul_f64 v[14:15], v[6:7], 0.5
	v_fma_f64 v[22:23], v[6:7], s[4:5], v[22:23]
	v_cmp_eq_u32_e64 s[4:5], 0, v2
	v_cndmask_b32_e32 v0, 0, v0, vcc
	v_cndmask_b32_e32 v1, v12, v1, vcc
	v_mul_f64 v[0:1], v[4:5], v[0:1]
	v_add_f64 v[16:17], -v[14:15], 1.0
	v_fma_f64 v[22:23], v[6:7], v[22:23], s[18:19]
	v_add_f64 v[20:21], -v[16:17], 1.0
	v_fma_f64 v[22:23], v[6:7], v[22:23], s[20:21]
	v_add_f64 v[14:15], v[20:21], -v[14:15]
	v_fma_f64 v[22:23], v[6:7], v[22:23], s[22:23]
	v_mul_f64 v[20:21], v[6:7], v[6:7]
	v_fma_f64 v[14:15], v[8:9], -v[10:11], v[14:15]
	v_fma_f64 v[22:23], v[6:7], v[22:23], s[16:17]
	v_fma_f64 v[14:15], v[20:21], v[22:23], v[14:15]
	v_mul_f64 v[20:21], v[10:11], 0.5
	v_add_f64 v[14:15], v[16:17], v[14:15]
	v_fma_f64 v[16:17], v[6:7], s[24:25], v[18:19]
	v_mul_f64 v[18:19], v[8:9], -v[6:7]
	v_fma_f64 v[16:17], v[6:7], v[16:17], s[28:29]
	v_fma_f64 v[16:17], v[6:7], v[16:17], s[40:41]
	;; [unrolled: 1-line block ×4, first 2 shown]
	v_fma_f64 v[6:7], v[6:7], v[16:17], -v[10:11]
	v_fma_f64 v[6:7], v[18:19], s[26:27], v[6:7]
	v_add_f64 v[6:7], v[8:9], -v[6:7]
	v_cndmask_b32_e64 v2, v14, v6, s[4:5]
	v_cndmask_b32_e64 v6, v15, v7, s[4:5]
	v_lshlrev_b32_e32 v7, 30, v13
	v_xor_b32_e32 v3, v7, v3
	v_and_b32_e32 v3, 0x80000000, v3
	v_xor_b32_e32 v3, v6, v3
	v_cndmask_b32_e32 v2, 0, v2, vcc
	v_cndmask_b32_e32 v3, v12, v3, vcc
	v_mul_f64 v[2:3], v[4:5], v[2:3]
                                        ; implicit-def: $vgpr4_vgpr5
.LBB36_49:
	s_andn2_saveexec_b64 s[16:17], s[6:7]
	s_cbranch_execz .LBB36_52
; %bb.50:
	s_mov_b32 s4, 0
	s_mov_b32 s5, 0x41d00000
	v_cmp_nlt_f64_e64 s[6:7], |v[2:3]|, s[4:5]
                                        ; implicit-def: $vgpr12
                                        ; implicit-def: $vgpr0_vgpr1
                                        ; implicit-def: $vgpr6_vgpr7
	s_and_saveexec_b64 s[4:5], s[6:7]
	s_xor_b64 s[8:9], exec, s[4:5]
	s_cbranch_execz .LBB36_53
; %bb.51:
	v_trig_preop_f64 v[0:1], |v[2:3]|, 0
	s_mov_b32 s4, 0
	s_mov_b32 s5, 0x7b000000
	s_movk_i32 s18, 0xff80
	v_ldexp_f64 v[8:9], |v[2:3]|, s18
	v_cmp_ge_f64_e64 vcc, |v[2:3]|, s[4:5]
	v_trig_preop_f64 v[6:7], |v[2:3]|, 1
	v_and_b32_e32 v10, 0x7fffffff, v3
	v_trig_preop_f64 v[16:17], |v[2:3]|, 2
	s_mov_b32 s4, 0
	s_mov_b32 s5, 0x7ff00000
	v_mov_b32_e32 v27, 0x40100000
	v_mov_b32_e32 v26, 0
	v_cndmask_b32_e32 v9, v10, v9, vcc
	v_cndmask_b32_e32 v8, v2, v8, vcc
	s_mov_b32 s18, 0x33145c07
	v_mul_f64 v[10:11], v[0:1], v[8:9]
	s_mov_b32 s19, 0x3c91a626
	v_mul_f64 v[12:13], v[6:7], v[8:9]
	v_mul_f64 v[22:23], v[16:17], v[8:9]
	v_fma_f64 v[0:1], v[0:1], v[8:9], -v[10:11]
	v_fma_f64 v[6:7], v[6:7], v[8:9], -v[12:13]
	;; [unrolled: 1-line block ×3, first 2 shown]
	v_add_f64 v[14:15], v[12:13], v[0:1]
	v_add_f64 v[18:19], v[14:15], -v[12:13]
	v_add_f64 v[24:25], v[10:11], v[14:15]
	v_add_f64 v[20:21], v[14:15], -v[18:19]
	v_add_f64 v[0:1], v[0:1], -v[18:19]
	v_add_f64 v[18:19], v[22:23], v[6:7]
	v_add_f64 v[10:11], v[24:25], -v[10:11]
	v_add_f64 v[12:13], v[12:13], -v[20:21]
	v_ldexp_f64 v[20:21], v[24:25], -2
	v_add_f64 v[28:29], v[18:19], -v[22:23]
	v_add_f64 v[10:11], v[14:15], -v[10:11]
	v_add_f64 v[0:1], v[0:1], v[12:13]
	v_fract_f64_e32 v[12:13], v[20:21]
	v_cmp_neq_f64_e64 vcc, |v[20:21]|, s[4:5]
	v_add_f64 v[6:7], v[6:7], -v[28:29]
	v_add_f64 v[14:15], v[18:19], v[0:1]
	v_ldexp_f64 v[12:13], v[12:13], 2
	v_add_f64 v[20:21], v[10:11], v[14:15]
	v_cndmask_b32_e32 v13, 0, v13, vcc
	v_cndmask_b32_e32 v12, 0, v12, vcc
	v_add_f64 v[30:31], v[14:15], -v[18:19]
	v_add_f64 v[24:25], v[20:21], v[12:13]
	v_add_f64 v[10:11], v[20:21], -v[10:11]
	v_add_f64 v[32:33], v[14:15], -v[30:31]
	;; [unrolled: 1-line block ×3, first 2 shown]
	v_cmp_gt_f64_e32 vcc, 0, v[24:25]
	v_add_f64 v[24:25], v[18:19], -v[28:29]
	v_add_f64 v[10:11], v[14:15], -v[10:11]
	;; [unrolled: 1-line block ×3, first 2 shown]
	v_cndmask_b32_e32 v27, 0, v27, vcc
	v_add_f64 v[12:13], v[12:13], v[26:27]
	v_add_f64 v[24:25], v[22:23], -v[24:25]
	v_add_f64 v[0:1], v[0:1], v[18:19]
	v_add_f64 v[27:28], v[20:21], v[12:13]
	;; [unrolled: 1-line block ×3, first 2 shown]
	v_cvt_i32_f64_e32 v29, v[27:28]
	v_add_f64 v[0:1], v[6:7], v[0:1]
	v_cvt_f64_i32_e32 v[27:28], v29
	v_add_f64 v[12:13], v[12:13], -v[27:28]
	v_add_f64 v[0:1], v[8:9], v[0:1]
	v_add_f64 v[6:7], v[20:21], v[12:13]
	;; [unrolled: 1-line block ×3, first 2 shown]
	v_mov_b32_e32 v10, 0x3ff00000
	v_add_f64 v[8:9], v[6:7], -v[12:13]
	v_cmp_le_f64_e32 vcc, 0.5, v[6:7]
	v_add_f64 v[8:9], v[20:21], -v[8:9]
	v_cndmask_b32_e32 v27, 0, v10, vcc
	v_add_f64 v[6:7], v[6:7], -v[26:27]
	v_addc_co_u32_e64 v12, s[4:5], 0, v29, vcc
	s_mov_b32 s4, 0x54442d18
	s_mov_b32 s5, 0x3ff921fb
	v_add_f64 v[0:1], v[0:1], v[8:9]
	v_add_f64 v[8:9], v[6:7], v[0:1]
	v_mul_f64 v[10:11], v[8:9], s[4:5]
	v_add_f64 v[6:7], v[8:9], -v[6:7]
	v_fma_f64 v[13:14], v[8:9], s[4:5], -v[10:11]
	v_add_f64 v[0:1], v[0:1], -v[6:7]
	v_fma_f64 v[6:7], v[8:9], s[18:19], v[13:14]
	v_fma_f64 v[6:7], v[0:1], s[4:5], v[6:7]
	v_add_f64 v[0:1], v[10:11], v[6:7]
	v_add_f64 v[8:9], v[0:1], -v[10:11]
	v_add_f64 v[6:7], v[6:7], -v[8:9]
	s_andn2_saveexec_b64 s[4:5], s[8:9]
	s_cbranch_execz .LBB36_55
	s_branch .LBB36_54
.LBB36_52:
	s_or_b64 exec, exec, s[16:17]
                                        ; implicit-def: $vgpr4_vgpr5
                                        ; implicit-def: $vgpr6
	s_andn2_saveexec_b64 s[6:7], s[14:15]
	s_cbranch_execnz .LBB36_61
	s_branch .LBB36_66
.LBB36_53:
	s_andn2_saveexec_b64 s[4:5], s[8:9]
	s_cbranch_execz .LBB36_55
.LBB36_54:
	s_mov_b32 s8, 0x6dc9c883
	s_mov_b32 s9, 0x3fe45f30
	v_mul_f64 v[0:1], |v[2:3]|, s[8:9]
	s_mov_b32 s8, 0x54442d18
	s_mov_b32 s9, 0xbff921fb
	;; [unrolled: 1-line block ×4, first 2 shown]
	v_rndne_f64_e32 v[8:9], v[0:1]
	v_fma_f64 v[0:1], v[8:9], s[8:9], |v[2:3]|
	v_mul_f64 v[6:7], v[8:9], s[18:19]
	s_mov_b32 s8, 0x252049c0
	s_mov_b32 s9, 0xb97b839a
	v_fma_f64 v[14:15], v[8:9], s[18:19], v[0:1]
	v_add_f64 v[10:11], v[0:1], v[6:7]
	s_mov_b32 s19, 0x3c91a626
	v_add_f64 v[12:13], v[0:1], -v[10:11]
	v_add_f64 v[10:11], v[10:11], -v[14:15]
	v_add_f64 v[0:1], v[12:13], v[6:7]
	v_fma_f64 v[6:7], v[8:9], s[18:19], v[6:7]
	v_cvt_i32_f64_e32 v12, v[8:9]
	v_add_f64 v[0:1], v[10:11], v[0:1]
	v_add_f64 v[0:1], v[0:1], -v[6:7]
	v_fma_f64 v[6:7], v[8:9], s[8:9], v[0:1]
	v_add_f64 v[0:1], v[14:15], v[6:7]
	v_add_f64 v[10:11], v[0:1], -v[14:15]
	v_add_f64 v[6:7], v[6:7], -v[10:11]
.LBB36_55:
	s_or_b64 exec, exec, s[4:5]
                                        ; implicit-def: $vgpr13
                                        ; implicit-def: $vgpr8_vgpr9
                                        ; implicit-def: $vgpr10_vgpr11
	s_and_saveexec_b64 s[4:5], s[6:7]
	s_xor_b64 s[6:7], exec, s[4:5]
	s_cbranch_execz .LBB36_57
; %bb.56:
	v_trig_preop_f64 v[8:9], |v[2:3]|, 0
	s_mov_b32 s4, 0
	s_mov_b32 s5, 0x7b000000
	v_cmp_ge_f64_e64 vcc, |v[2:3]|, s[4:5]
	s_movk_i32 s4, 0xff80
	v_ldexp_f64 v[13:14], |v[2:3]|, s4
	v_trig_preop_f64 v[10:11], |v[2:3]|, 1
	v_and_b32_e32 v15, 0x7fffffff, v3
	s_mov_b32 s4, 0
	s_mov_b32 s5, 0x7ff00000
	;; [unrolled: 1-line block ×4, first 2 shown]
	v_cndmask_b32_e32 v14, v15, v14, vcc
	v_cndmask_b32_e32 v13, v2, v13, vcc
	v_mul_f64 v[17:18], v[8:9], v[13:14]
	v_mul_f64 v[15:16], v[10:11], v[13:14]
	v_fma_f64 v[8:9], v[8:9], v[13:14], -v[17:18]
	v_fma_f64 v[10:11], v[10:11], v[13:14], -v[15:16]
	v_add_f64 v[19:20], v[15:16], v[8:9]
	v_add_f64 v[27:28], v[19:20], -v[15:16]
	v_add_f64 v[21:22], v[17:18], v[19:20]
	v_add_f64 v[8:9], v[8:9], -v[27:28]
	v_add_f64 v[27:28], v[19:20], -v[27:28]
	v_ldexp_f64 v[23:24], v[21:22], -2
	v_add_f64 v[17:18], v[21:22], -v[17:18]
	v_add_f64 v[27:28], v[15:16], -v[27:28]
	v_trig_preop_f64 v[15:16], |v[2:3]|, 2
	v_fract_f64_e32 v[25:26], v[23:24]
	v_add_f64 v[17:18], v[19:20], -v[17:18]
	v_cmp_neq_f64_e64 vcc, |v[23:24]|, s[4:5]
	v_add_f64 v[8:9], v[8:9], v[27:28]
	v_mul_f64 v[27:28], v[15:16], v[13:14]
	v_add_f64 v[29:30], v[27:28], v[10:11]
	v_add_f64 v[31:32], v[29:30], v[8:9]
	v_add_f64 v[21:22], v[31:32], -v[29:30]
	v_add_f64 v[19:20], v[17:18], v[31:32]
	v_add_f64 v[8:9], v[8:9], -v[21:22]
	v_add_f64 v[21:22], v[31:32], -v[21:22]
	v_add_f64 v[17:18], v[19:20], -v[17:18]
	v_add_f64 v[21:22], v[29:30], -v[21:22]
	v_add_f64 v[17:18], v[31:32], -v[17:18]
	v_add_f64 v[8:9], v[8:9], v[21:22]
	v_add_f64 v[21:22], v[29:30], -v[27:28]
	v_add_f64 v[10:11], v[10:11], -v[21:22]
	;; [unrolled: 1-line block ×4, first 2 shown]
	v_add_f64 v[10:11], v[10:11], v[21:22]
	v_add_f64 v[8:9], v[10:11], v[8:9]
	v_fma_f64 v[10:11], v[15:16], v[13:14], -v[27:28]
	v_add_f64 v[8:9], v[10:11], v[8:9]
	v_ldexp_f64 v[10:11], v[25:26], 2
	v_add_f64 v[8:9], v[17:18], v[8:9]
	v_cndmask_b32_e32 v11, 0, v11, vcc
	v_cndmask_b32_e32 v10, 0, v10, vcc
	v_add_f64 v[13:14], v[19:20], v[10:11]
	v_cmp_gt_f64_e32 vcc, 0, v[13:14]
	v_mov_b32_e32 v13, 0x40100000
	v_mov_b32_e32 v14, 0
	v_cndmask_b32_e32 v15, 0, v13, vcc
	v_add_f64 v[10:11], v[10:11], v[14:15]
	v_add_f64 v[15:16], v[19:20], v[10:11]
	v_cvt_i32_f64_e32 v13, v[15:16]
	v_cvt_f64_i32_e32 v[15:16], v13
	v_add_f64 v[10:11], v[10:11], -v[15:16]
	v_add_f64 v[16:17], v[19:20], v[10:11]
	v_add_f64 v[10:11], v[16:17], -v[10:11]
	v_cmp_le_f64_e32 vcc, 0.5, v[16:17]
	v_add_f64 v[10:11], v[19:20], -v[10:11]
	v_addc_co_u32_e64 v13, s[4:5], 0, v13, vcc
	s_mov_b32 s4, 0x54442d18
	s_mov_b32 s5, 0x3ff921fb
	v_add_f64 v[8:9], v[8:9], v[10:11]
	v_mov_b32_e32 v10, 0x3ff00000
	v_cndmask_b32_e32 v15, 0, v10, vcc
	v_add_f64 v[10:11], v[16:17], -v[14:15]
	v_add_f64 v[14:15], v[10:11], v[8:9]
	v_add_f64 v[10:11], v[14:15], -v[10:11]
	v_add_f64 v[8:9], v[8:9], -v[10:11]
	v_mul_f64 v[10:11], v[14:15], s[4:5]
	v_fma_f64 v[16:17], v[14:15], s[4:5], -v[10:11]
	v_fma_f64 v[14:15], v[14:15], s[8:9], v[16:17]
	v_fma_f64 v[14:15], v[8:9], s[4:5], v[14:15]
	v_add_f64 v[8:9], v[10:11], v[14:15]
	v_add_f64 v[10:11], v[8:9], -v[10:11]
	v_add_f64 v[10:11], v[14:15], -v[10:11]
	s_andn2_saveexec_b64 s[4:5], s[6:7]
	s_cbranch_execnz .LBB36_58
	s_branch .LBB36_59
.LBB36_57:
	s_andn2_saveexec_b64 s[4:5], s[6:7]
	s_cbranch_execz .LBB36_59
.LBB36_58:
	s_mov_b32 s6, 0x6dc9c883
	s_mov_b32 s7, 0x3fe45f30
	v_mul_f64 v[8:9], |v[2:3]|, s[6:7]
	s_mov_b32 s6, 0x54442d18
	s_mov_b32 s7, 0xbff921fb
	s_mov_b32 s9, 0xbc91a626
	s_mov_b32 s8, 0x33145c00
	v_rndne_f64_e32 v[13:14], v[8:9]
	v_fma_f64 v[8:9], v[13:14], s[6:7], |v[2:3]|
	v_mul_f64 v[10:11], v[13:14], s[8:9]
	s_mov_b32 s6, 0x252049c0
	s_mov_b32 s7, 0xb97b839a
	v_fma_f64 v[19:20], v[13:14], s[8:9], v[8:9]
	v_add_f64 v[15:16], v[8:9], v[10:11]
	s_mov_b32 s9, 0x3c91a626
	v_add_f64 v[17:18], v[8:9], -v[15:16]
	v_add_f64 v[15:16], v[15:16], -v[19:20]
	v_add_f64 v[8:9], v[17:18], v[10:11]
	v_fma_f64 v[10:11], v[13:14], s[8:9], v[10:11]
	v_add_f64 v[8:9], v[15:16], v[8:9]
	v_add_f64 v[8:9], v[8:9], -v[10:11]
	v_fma_f64 v[10:11], v[13:14], s[6:7], v[8:9]
	v_cvt_i32_f64_e32 v13, v[13:14]
	v_add_f64 v[8:9], v[19:20], v[10:11]
	v_add_f64 v[15:16], v[8:9], -v[19:20]
	v_add_f64 v[10:11], v[10:11], -v[15:16]
.LBB36_59:
	s_or_b64 exec, exec, s[4:5]
	v_mul_f64 v[14:15], v[0:1], v[0:1]
	s_mov_b32 s4, 0x9037ab78
	s_mov_b32 s5, 0x3e21eeb6
	;; [unrolled: 1-line block ×3, first 2 shown]
	v_mov_b32_e32 v17, s5
	s_mov_b32 s7, 0xbda907db
	v_mov_b32_e32 v16, s4
	s_mov_b32 s18, 0xa17f65f6
	v_fma_f64 v[18:19], v[14:15], s[6:7], v[16:17]
	v_mul_f64 v[20:21], v[14:15], 0.5
	s_mov_b32 s19, 0xbe927e4f
	s_mov_b32 s4, 0xb42fdfa7
	;; [unrolled: 1-line block ×5, first 2 shown]
	v_mov_b32_e32 v27, s5
	v_fma_f64 v[18:19], v[14:15], v[18:19], s[18:19]
	v_add_f64 v[22:23], -v[20:21], 1.0
	s_mov_b32 s23, 0x3efa01a0
	s_mov_b32 s9, 0x3de5e0b2
	v_mov_b32_e32 v26, s4
	v_fma_f64 v[28:29], v[14:15], s[8:9], v[26:27]
	s_mov_b32 s24, 0x16c16967
	s_mov_b32 s26, 0x796cde01
	v_fma_f64 v[18:19], v[14:15], v[18:19], s[22:23]
	v_add_f64 v[24:25], -v[22:23], 1.0
	s_mov_b32 s25, 0xbf56c16c
	s_mov_b32 s27, 0x3ec71de3
	;; [unrolled: 1-line block ×6, first 2 shown]
	v_fma_f64 v[18:19], v[14:15], v[18:19], s[24:25]
	v_add_f64 v[20:21], v[24:25], -v[20:21]
	v_fma_f64 v[24:25], v[14:15], v[28:29], s[26:27]
	v_mul_f64 v[28:29], v[14:15], v[14:15]
	s_mov_b32 s20, 0x11110bb3
	s_mov_b32 s21, 0x3f811111
	v_mul_f64 v[30:31], v[6:7], 0.5
	v_fma_f64 v[18:19], v[14:15], v[18:19], s[4:5]
	v_fma_f64 v[20:21], v[0:1], -v[6:7], v[20:21]
	v_fma_f64 v[24:25], v[14:15], v[24:25], s[28:29]
	v_fma_f64 v[18:19], v[28:29], v[18:19], v[20:21]
	v_mul_f64 v[20:21], v[8:9], v[8:9]
	v_mul_f64 v[28:29], v[0:1], -v[14:15]
	v_fma_f64 v[24:25], v[14:15], v[24:25], s[20:21]
	v_add_f64 v[18:19], v[22:23], v[18:19]
	v_fma_f64 v[16:17], v[20:21], s[6:7], v[16:17]
	v_fma_f64 v[26:27], v[20:21], s[8:9], v[26:27]
	v_fma_f64 v[24:25], v[28:29], v[24:25], v[30:31]
	v_mul_f64 v[30:31], v[20:21], 0.5
	s_mov_b32 s6, 0x19ba0da4
	s_mov_b32 s7, 0xc0937be3
	v_add_f64 v[4:5], v[4:5], s[6:7]
	s_mov_b32 s6, 0x652b82fe
	v_fma_f64 v[16:17], v[20:21], v[16:17], s[18:19]
	v_fma_f64 v[26:27], v[20:21], v[26:27], s[26:27]
	v_fma_f64 v[6:7], v[14:15], v[24:25], -v[6:7]
	v_add_f64 v[14:15], -v[30:31], 1.0
	s_mov_b32 s7, 0x3ff71547
	s_mov_b32 s8, 0
	;; [unrolled: 1-line block ×3, first 2 shown]
	v_cmp_ngt_f64_e64 s[8:9], s[8:9], v[4:5]
	v_fma_f64 v[16:17], v[20:21], v[16:17], s[22:23]
	v_fma_f64 v[26:27], v[20:21], v[26:27], s[28:29]
	s_movk_i32 s18, 0x1f8
	v_add_f64 v[24:25], -v[14:15], 1.0
	v_fma_f64 v[16:17], v[20:21], v[16:17], s[24:25]
	v_add_f64 v[24:25], v[24:25], -v[30:31]
	v_mul_f64 v[30:31], v[20:21], v[20:21]
	v_fma_f64 v[16:17], v[20:21], v[16:17], s[4:5]
	v_fma_f64 v[24:25], v[8:9], -v[10:11], v[24:25]
	v_fma_f64 v[16:17], v[30:31], v[16:17], v[24:25]
	v_fma_f64 v[24:25], v[20:21], v[26:27], s[20:21]
	v_mul_f64 v[26:27], v[8:9], -v[20:21]
	v_mul_f64 v[30:31], v[10:11], 0.5
	s_mov_b32 s20, 0x11122322
	v_add_f64 v[14:15], v[14:15], v[16:17]
	v_fma_f64 v[24:25], v[26:27], v[24:25], v[30:31]
	v_mul_f64 v[30:31], v[4:5], s[6:7]
	s_mov_b32 s6, 0xfefa39ef
	s_mov_b32 s7, 0xbfe62e42
	v_fma_f64 v[10:11], v[20:21], v[24:25], -v[10:11]
	v_rndne_f64_e32 v[30:31], v[30:31]
	v_mov_b32_e32 v24, 0xfca7ab0c
	v_mov_b32_e32 v25, 0x3e928af3
	v_fma_f64 v[20:21], v[30:31], s[6:7], v[4:5]
	s_mov_b32 s6, 0x3b39803f
	s_mov_b32 s7, 0xbc7abc9e
	v_fma_f64 v[20:21], v[30:31], s[6:7], v[20:21]
	s_mov_b32 s6, 0x6a5dcb37
	s_mov_b32 s7, 0x3e5ade15
	;; [unrolled: 3-line block ×7, first 2 shown]
	s_mov_b32 s5, 0xbfc55555
	v_fma_f64 v[6:7], v[28:29], s[4:5], v[6:7]
	v_fma_f64 v[10:11], v[26:27], s[4:5], v[10:11]
	v_and_b32_e32 v28, 1, v12
	v_cmp_class_f64_e64 s[4:5], v[2:3], s18
	v_fma_f64 v[24:25], v[20:21], v[24:25], s[20:21]
	v_cmp_eq_u32_e32 vcc, 0, v28
	v_lshlrev_b32_e32 v12, 30, v12
	v_and_b32_e32 v12, 0x80000000, v12
	v_add_f64 v[0:1], v[0:1], -v[6:7]
	v_add_f64 v[8:9], v[8:9], -v[10:11]
	v_mov_b32_e32 v29, 0x7ff80000
	v_fma_f64 v[24:25], v[20:21], v[24:25], s[6:7]
	s_mov_b32 s6, 0x55555511
	s_mov_b32 s7, 0x3fc55555
	v_xor_b32_e32 v1, 0x80000000, v1
	v_cndmask_b32_e32 v0, v0, v18, vcc
	v_cndmask_b32_e32 v1, v1, v19, vcc
	v_xor_b32_e32 v1, v1, v12
	v_fma_f64 v[24:25], v[20:21], v[24:25], s[6:7]
	s_mov_b32 s6, 11
	s_mov_b32 s7, 0x3fe00000
	v_cndmask_b32_e64 v0, 0, v0, s[4:5]
	v_cndmask_b32_e64 v1, v29, v1, s[4:5]
	v_fma_f64 v[24:25], v[20:21], v[24:25], s[6:7]
	s_mov_b32 s6, 0
	s_mov_b32 s7, 0x40900000
	v_cmp_nlt_f64_e64 s[6:7], s[6:7], v[4:5]
	v_fma_f64 v[24:25], v[20:21], v[24:25], 1.0
	s_and_b64 vcc, s[8:9], s[6:7]
	v_fma_f64 v[20:21], v[20:21], v[24:25], 1.0
	v_cvt_i32_f64_e32 v25, v[30:31]
	v_mov_b32_e32 v24, 0x7ff00000
	v_ldexp_f64 v[6:7], v[20:21], v25
	v_cndmask_b32_e64 v2, v24, v7, s[6:7]
	v_cndmask_b32_e64 v2, 0, v2, s[8:9]
	v_and_b32_e32 v4, 0xfffff, v2
	v_lshrrev_b32_e32 v2, 20, v2
	v_or_b32_e32 v5, 0x7fe00000, v4
	v_cndmask_b32_e32 v4, 0, v6, vcc
	v_add_u32_e32 v6, 0xffffff09, v2
	v_and_b32_e32 v2, 1, v13
	v_cmp_eq_u32_e32 vcc, 0, v2
	v_cndmask_b32_e32 v2, v14, v8, vcc
	v_cndmask_b32_e32 v8, v15, v9, vcc
	v_lshlrev_b32_e32 v9, 30, v13
	v_xor_b32_e32 v3, v9, v3
	v_and_b32_e32 v3, 0x80000000, v3
	v_xor_b32_e32 v3, v8, v3
	v_cndmask_b32_e64 v2, 0, v2, s[4:5]
	v_cndmask_b32_e64 v3, v29, v3, s[4:5]
	v_mul_f64 v[0:1], v[4:5], v[0:1]
	v_mul_f64 v[2:3], v[4:5], v[2:3]
	v_lshrrev_b16_e32 v7, 15, v6
	v_add_u16_e32 v4, v6, v7
	v_ashrrev_i16_e32 v4, 1, v4
	v_bfe_i32 v7, v4, 0, 16
	v_mov_b32_e32 v8, 0x3ff00000
	v_lshl_add_u32 v5, v7, 20, v8
	v_mov_b32_e32 v4, 0
	v_mul_f64 v[0:1], v[0:1], v[4:5]
	v_mul_f64 v[2:3], v[2:3], v[4:5]
	v_sub_u32_e32 v5, v6, v7
	v_lshl_add_u32 v5, v5, 20, v8
	v_mul_f64 v[0:1], v[0:1], v[4:5]
	v_mul_f64 v[2:3], v[2:3], v[4:5]
	s_or_b64 exec, exec, s[16:17]
                                        ; implicit-def: $vgpr4_vgpr5
                                        ; implicit-def: $vgpr6
.LBB36_60:
	s_andn2_saveexec_b64 s[6:7], s[14:15]
	s_cbranch_execz .LBB36_66
.LBB36_61:
	v_add_f64 v[2:3], v[2:3], -v[2:3]
	s_mov_b32 s4, 0x7ff00000
	v_cmp_ne_u32_e32 vcc, 0, v4
	v_cmp_ne_u32_e64 s[4:5], s4, v6
	s_or_b64 s[4:5], vcc, s[4:5]
	s_and_saveexec_b64 s[8:9], s[4:5]
	s_xor_b64 s[4:5], exec, s[8:9]
; %bb.62:
                                        ; implicit-def: $vgpr4_vgpr5
; %bb.63:
	s_or_saveexec_b64 s[4:5], s[4:5]
	v_mov_b32_e32 v0, v2
	v_mov_b32_e32 v1, v3
	s_xor_b64 exec, exec, s[4:5]
; %bb.64:
	v_cmp_lt_i64_e32 vcc, -1, v[4:5]
	v_cndmask_b32_e32 v1, 0, v5, vcc
	v_cndmask_b32_e32 v0, 0, v4, vcc
	;; [unrolled: 1-line block ×4, first 2 shown]
; %bb.65:
	s_or_b64 exec, exec, s[4:5]
.LBB36_66:
	s_or_b64 exec, exec, s[6:7]
.LBB36_67:
	s_andn2_saveexec_b64 s[6:7], s[12:13]
	s_cbranch_execz .LBB36_77
; %bb.68:
	v_trig_preop_f64 v[10:11], |v[2:3]|, 0
	v_trig_preop_f64 v[8:9], |v[2:3]|, 1
	;; [unrolled: 1-line block ×3, first 2 shown]
	s_mov_b32 s4, 0
	s_mov_b32 s5, 0x41d00000
	v_cmp_nlt_f64_e64 s[8:9], |v[2:3]|, s[4:5]
                                        ; implicit-def: $vgpr16
                                        ; implicit-def: $vgpr0_vgpr1
                                        ; implicit-def: $vgpr4_vgpr5
	s_and_saveexec_b64 s[4:5], s[8:9]
	s_xor_b64 s[12:13], exec, s[4:5]
	s_cbranch_execz .LBB36_70
; %bb.69:
	s_mov_b32 s4, 0
	s_mov_b32 s5, 0x7b000000
	s_movk_i32 s14, 0xff80
	v_ldexp_f64 v[0:1], |v[2:3]|, s14
	v_cmp_ge_f64_e64 vcc, |v[2:3]|, s[4:5]
	v_and_b32_e32 v4, 0x7fffffff, v3
	s_mov_b32 s4, 0
	s_mov_b32 s5, 0x7ff00000
	v_mov_b32_e32 v30, 0x40100000
	s_mov_b32 s14, 0x33145c07
	s_mov_b32 s15, 0x3c91a626
	v_cndmask_b32_e32 v1, v4, v1, vcc
	v_cndmask_b32_e32 v0, v2, v0, vcc
	v_mul_f64 v[4:5], v[10:11], v[0:1]
	v_mul_f64 v[12:13], v[8:9], v[0:1]
	;; [unrolled: 1-line block ×3, first 2 shown]
	v_fma_f64 v[14:15], v[10:11], v[0:1], -v[4:5]
	v_fma_f64 v[24:25], v[8:9], v[0:1], -v[12:13]
	;; [unrolled: 1-line block ×3, first 2 shown]
	v_add_f64 v[16:17], v[12:13], v[14:15]
	v_add_f64 v[18:19], v[16:17], -v[12:13]
	v_add_f64 v[26:27], v[4:5], v[16:17]
	v_add_f64 v[20:21], v[16:17], -v[18:19]
	v_add_f64 v[14:15], v[14:15], -v[18:19]
	v_add_f64 v[18:19], v[22:23], v[24:25]
	v_add_f64 v[4:5], v[26:27], -v[4:5]
	v_add_f64 v[12:13], v[12:13], -v[20:21]
	v_ldexp_f64 v[20:21], v[26:27], -2
	v_add_f64 v[4:5], v[16:17], -v[4:5]
	v_add_f64 v[12:13], v[14:15], v[12:13]
	v_fract_f64_e32 v[14:15], v[20:21]
	v_cmp_neq_f64_e64 vcc, |v[20:21]|, s[4:5]
	v_add_f64 v[16:17], v[18:19], v[12:13]
	v_ldexp_f64 v[14:15], v[14:15], 2
	v_add_f64 v[20:21], v[4:5], v[16:17]
	v_cndmask_b32_e32 v15, 0, v15, vcc
	v_cndmask_b32_e32 v14, 0, v14, vcc
	v_add_f64 v[28:29], v[16:17], -v[18:19]
	v_add_f64 v[26:27], v[20:21], v[14:15]
	v_add_f64 v[4:5], v[20:21], -v[4:5]
	v_add_f64 v[12:13], v[12:13], -v[28:29]
	;; [unrolled: 1-line block ×3, first 2 shown]
	v_cmp_gt_f64_e32 vcc, 0, v[26:27]
	v_add_f64 v[26:27], v[18:19], -v[22:23]
	v_add_f64 v[4:5], v[16:17], -v[4:5]
	v_cndmask_b32_e32 v31, 0, v30, vcc
	v_mov_b32_e32 v30, 0
	v_add_f64 v[14:15], v[14:15], v[30:31]
	v_add_f64 v[24:25], v[24:25], -v[26:27]
	v_add_f64 v[26:27], v[18:19], -v[26:27]
	;; [unrolled: 1-line block ×3, first 2 shown]
	v_add_f64 v[28:29], v[20:21], v[14:15]
	v_add_f64 v[26:27], v[22:23], -v[26:27]
	v_add_f64 v[12:13], v[12:13], v[18:19]
	v_cvt_i32_f64_e32 v28, v[28:29]
	v_add_f64 v[24:25], v[24:25], v[26:27]
	v_cvt_f64_i32_e32 v[26:27], v28
	v_add_f64 v[14:15], v[14:15], -v[26:27]
	v_add_f64 v[12:13], v[24:25], v[12:13]
	v_add_f64 v[18:19], v[20:21], v[14:15]
	;; [unrolled: 1-line block ×3, first 2 shown]
	v_add_f64 v[12:13], v[18:19], -v[14:15]
	v_cmp_le_f64_e32 vcc, 0.5, v[18:19]
	v_add_f64 v[0:1], v[4:5], v[0:1]
	v_add_f64 v[4:5], v[20:21], -v[12:13]
	v_mov_b32_e32 v12, 0x3ff00000
	v_cndmask_b32_e32 v31, 0, v12, vcc
	v_addc_co_u32_e64 v16, s[4:5], 0, v28, vcc
	s_mov_b32 s4, 0x54442d18
	s_mov_b32 s5, 0x3ff921fb
	v_add_f64 v[0:1], v[0:1], v[4:5]
	v_add_f64 v[4:5], v[18:19], -v[30:31]
	v_add_f64 v[12:13], v[4:5], v[0:1]
	v_mul_f64 v[14:15], v[12:13], s[4:5]
	v_add_f64 v[4:5], v[12:13], -v[4:5]
	v_fma_f64 v[17:18], v[12:13], s[4:5], -v[14:15]
	v_add_f64 v[0:1], v[0:1], -v[4:5]
	v_fma_f64 v[4:5], v[12:13], s[14:15], v[17:18]
	v_fma_f64 v[4:5], v[0:1], s[4:5], v[4:5]
	v_add_f64 v[0:1], v[14:15], v[4:5]
	v_add_f64 v[12:13], v[0:1], -v[14:15]
	v_add_f64 v[4:5], v[4:5], -v[12:13]
	s_andn2_saveexec_b64 s[4:5], s[12:13]
	s_cbranch_execz .LBB36_72
	s_branch .LBB36_71
.LBB36_70:
	s_andn2_saveexec_b64 s[4:5], s[12:13]
	s_cbranch_execz .LBB36_72
.LBB36_71:
	s_mov_b32 s12, 0x6dc9c883
	s_mov_b32 s13, 0x3fe45f30
	v_mul_f64 v[0:1], |v[2:3]|, s[12:13]
	s_mov_b32 s12, 0x54442d18
	s_mov_b32 s13, 0xbff921fb
	;; [unrolled: 1-line block ×4, first 2 shown]
	v_rndne_f64_e32 v[12:13], v[0:1]
	v_fma_f64 v[0:1], v[12:13], s[12:13], |v[2:3]|
	v_mul_f64 v[4:5], v[12:13], s[14:15]
	s_mov_b32 s12, 0x252049c0
	s_mov_b32 s13, 0xb97b839a
	v_fma_f64 v[18:19], v[12:13], s[14:15], v[0:1]
	v_add_f64 v[14:15], v[0:1], v[4:5]
	s_mov_b32 s15, 0x3c91a626
	v_add_f64 v[16:17], v[0:1], -v[14:15]
	v_add_f64 v[14:15], v[14:15], -v[18:19]
	v_add_f64 v[0:1], v[16:17], v[4:5]
	v_fma_f64 v[4:5], v[12:13], s[14:15], v[4:5]
	v_cvt_i32_f64_e32 v16, v[12:13]
	v_add_f64 v[0:1], v[14:15], v[0:1]
	v_add_f64 v[0:1], v[0:1], -v[4:5]
	v_fma_f64 v[4:5], v[12:13], s[12:13], v[0:1]
	v_add_f64 v[0:1], v[18:19], v[4:5]
	v_add_f64 v[14:15], v[0:1], -v[18:19]
	v_add_f64 v[4:5], v[4:5], -v[14:15]
.LBB36_72:
	s_or_b64 exec, exec, s[4:5]
                                        ; implicit-def: $vgpr17
                                        ; implicit-def: $vgpr12_vgpr13
                                        ; implicit-def: $vgpr14_vgpr15
	s_and_saveexec_b64 s[4:5], s[8:9]
	s_xor_b64 s[8:9], exec, s[4:5]
	s_cbranch_execz .LBB36_74
; %bb.73:
	s_mov_b32 s4, 0
	s_mov_b32 s5, 0x7b000000
	v_cmp_ge_f64_e64 vcc, |v[2:3]|, s[4:5]
	s_movk_i32 s4, 0xff80
	v_ldexp_f64 v[12:13], |v[2:3]|, s4
	v_and_b32_e32 v14, 0x7fffffff, v3
	s_mov_b32 s4, 0
	s_mov_b32 s5, 0x7ff00000
	;; [unrolled: 1-line block ×4, first 2 shown]
	v_cndmask_b32_e32 v13, v14, v13, vcc
	v_cndmask_b32_e32 v12, v2, v12, vcc
	v_mul_f64 v[17:18], v[10:11], v[12:13]
	v_mul_f64 v[14:15], v[8:9], v[12:13]
	v_fma_f64 v[10:11], v[10:11], v[12:13], -v[17:18]
	v_fma_f64 v[8:9], v[8:9], v[12:13], -v[14:15]
	v_add_f64 v[19:20], v[14:15], v[10:11]
	v_add_f64 v[27:28], v[19:20], -v[14:15]
	v_add_f64 v[21:22], v[17:18], v[19:20]
	v_add_f64 v[10:11], v[10:11], -v[27:28]
	v_add_f64 v[27:28], v[19:20], -v[27:28]
	v_ldexp_f64 v[23:24], v[21:22], -2
	v_add_f64 v[17:18], v[21:22], -v[17:18]
	v_add_f64 v[27:28], v[14:15], -v[27:28]
	v_mul_f64 v[14:15], v[6:7], v[12:13]
	v_fract_f64_e32 v[25:26], v[23:24]
	v_add_f64 v[17:18], v[19:20], -v[17:18]
	v_cmp_neq_f64_e64 vcc, |v[23:24]|, s[4:5]
	v_add_f64 v[10:11], v[10:11], v[27:28]
	v_add_f64 v[27:28], v[14:15], v[8:9]
	v_fma_f64 v[6:7], v[6:7], v[12:13], -v[14:15]
	v_add_f64 v[29:30], v[27:28], v[10:11]
	v_add_f64 v[21:22], v[29:30], -v[27:28]
	v_add_f64 v[19:20], v[17:18], v[29:30]
	v_add_f64 v[10:11], v[10:11], -v[21:22]
	v_add_f64 v[21:22], v[29:30], -v[21:22]
	;; [unrolled: 1-line block ×5, first 2 shown]
	v_add_f64 v[10:11], v[10:11], v[21:22]
	v_add_f64 v[21:22], v[27:28], -v[14:15]
	v_add_f64 v[8:9], v[8:9], -v[21:22]
	;; [unrolled: 1-line block ×4, first 2 shown]
	v_add_f64 v[8:9], v[8:9], v[21:22]
	v_add_f64 v[8:9], v[8:9], v[10:11]
	;; [unrolled: 1-line block ×3, first 2 shown]
	v_ldexp_f64 v[8:9], v[25:26], 2
	v_add_f64 v[6:7], v[17:18], v[6:7]
	v_cndmask_b32_e32 v9, 0, v9, vcc
	v_cndmask_b32_e32 v8, 0, v8, vcc
	v_add_f64 v[10:11], v[19:20], v[8:9]
	v_cmp_gt_f64_e32 vcc, 0, v[10:11]
	v_mov_b32_e32 v10, 0x40100000
	v_cndmask_b32_e32 v11, 0, v10, vcc
	v_mov_b32_e32 v10, 0
	v_add_f64 v[8:9], v[8:9], v[10:11]
	v_add_f64 v[11:12], v[19:20], v[8:9]
	v_cvt_i32_f64_e32 v14, v[11:12]
	v_cvt_f64_i32_e32 v[11:12], v14
	v_add_f64 v[8:9], v[8:9], -v[11:12]
	v_add_f64 v[12:13], v[19:20], v[8:9]
	v_add_f64 v[8:9], v[12:13], -v[8:9]
	v_cmp_le_f64_e32 vcc, 0.5, v[12:13]
	v_add_f64 v[8:9], v[19:20], -v[8:9]
	v_addc_co_u32_e64 v17, s[4:5], 0, v14, vcc
	s_mov_b32 s4, 0x54442d18
	s_mov_b32 s5, 0x3ff921fb
	v_add_f64 v[6:7], v[6:7], v[8:9]
	v_mov_b32_e32 v8, 0x3ff00000
	v_cndmask_b32_e32 v11, 0, v8, vcc
	v_add_f64 v[8:9], v[12:13], -v[10:11]
	v_add_f64 v[10:11], v[8:9], v[6:7]
	v_add_f64 v[8:9], v[10:11], -v[8:9]
	v_add_f64 v[6:7], v[6:7], -v[8:9]
	v_mul_f64 v[8:9], v[10:11], s[4:5]
	v_fma_f64 v[12:13], v[10:11], s[4:5], -v[8:9]
	v_fma_f64 v[10:11], v[10:11], s[12:13], v[12:13]
	v_fma_f64 v[6:7], v[6:7], s[4:5], v[10:11]
	v_add_f64 v[12:13], v[8:9], v[6:7]
	v_add_f64 v[8:9], v[12:13], -v[8:9]
	v_add_f64 v[14:15], v[6:7], -v[8:9]
	s_andn2_saveexec_b64 s[4:5], s[8:9]
	s_cbranch_execnz .LBB36_75
	s_branch .LBB36_76
.LBB36_74:
	s_andn2_saveexec_b64 s[4:5], s[8:9]
	s_cbranch_execz .LBB36_76
.LBB36_75:
	s_mov_b32 s8, 0x6dc9c883
	s_mov_b32 s9, 0x3fe45f30
	v_mul_f64 v[6:7], |v[2:3]|, s[8:9]
	s_mov_b32 s8, 0x54442d18
	s_mov_b32 s9, 0xbff921fb
	;; [unrolled: 1-line block ×4, first 2 shown]
	v_rndne_f64_e32 v[6:7], v[6:7]
	v_fma_f64 v[8:9], v[6:7], s[8:9], |v[2:3]|
	v_mul_f64 v[10:11], v[6:7], s[12:13]
	s_mov_b32 s8, 0x252049c0
	s_mov_b32 s9, 0xb97b839a
	v_cvt_i32_f64_e32 v17, v[6:7]
	v_add_f64 v[12:13], v[8:9], v[10:11]
	v_add_f64 v[14:15], v[8:9], -v[12:13]
	v_fma_f64 v[8:9], v[6:7], s[12:13], v[8:9]
	s_mov_b32 s13, 0x3c91a626
	v_add_f64 v[14:15], v[14:15], v[10:11]
	v_add_f64 v[12:13], v[12:13], -v[8:9]
	v_fma_f64 v[10:11], v[6:7], s[12:13], v[10:11]
	v_add_f64 v[12:13], v[12:13], v[14:15]
	v_add_f64 v[10:11], v[12:13], -v[10:11]
	v_fma_f64 v[10:11], v[6:7], s[8:9], v[10:11]
	v_add_f64 v[12:13], v[8:9], v[10:11]
	v_add_f64 v[8:9], v[12:13], -v[8:9]
	v_add_f64 v[14:15], v[10:11], -v[8:9]
.LBB36_76:
	s_or_b64 exec, exec, s[4:5]
	v_mul_f64 v[6:7], v[0:1], v[0:1]
	s_mov_b32 s8, 0xb42fdfa7
	s_mov_b32 s9, 0xbe5ae600
	;; [unrolled: 1-line block ×3, first 2 shown]
	v_mov_b32_e32 v8, s8
	s_mov_b32 s5, 0x3de5e0b2
	v_mov_b32_e32 v9, s9
	s_mov_b32 s8, 0x796cde01
	v_mul_f64 v[10:11], v[6:7], 0.5
	v_fma_f64 v[18:19], v[6:7], s[4:5], v[8:9]
	s_mov_b32 s9, 0x3ec71de3
	v_mul_f64 v[22:23], v[12:13], v[12:13]
	s_mov_b32 s12, 0x19e83e5c
	s_mov_b32 s13, 0xbf2a01a0
	;; [unrolled: 1-line block ×4, first 2 shown]
	v_add_f64 v[20:21], -v[10:11], 1.0
	v_fma_f64 v[18:19], v[6:7], v[18:19], s[8:9]
	v_mul_f64 v[28:29], v[4:5], 0.5
	v_mul_f64 v[26:27], v[22:23], 0.5
	v_fma_f64 v[8:9], v[22:23], s[4:5], v[8:9]
	v_mul_f64 v[30:31], v[0:1], -v[6:7]
	s_mov_b32 s4, 0x9037ab78
	s_mov_b32 s5, 0x3e21eeb6
	v_add_f64 v[24:25], -v[20:21], 1.0
	v_fma_f64 v[18:19], v[6:7], v[18:19], s[12:13]
	v_fma_f64 v[8:9], v[22:23], v[8:9], s[8:9]
	s_mov_b32 s8, 0x46cc5e42
	s_mov_b32 s9, 0xbda907db
	v_add_f64 v[10:11], v[24:25], -v[10:11]
	v_fma_f64 v[18:19], v[6:7], v[18:19], s[14:15]
	v_add_f64 v[24:25], -v[26:27], 1.0
	v_fma_f64 v[8:9], v[22:23], v[8:9], s[12:13]
	s_mov_b32 s12, 0x55555555
	s_mov_b32 s13, 0x3fa55555
	v_fma_f64 v[10:11], v[0:1], -v[4:5], v[10:11]
	v_fma_f64 v[18:19], v[30:31], v[18:19], v[28:29]
	v_add_f64 v[28:29], -v[24:25], 1.0
	v_fma_f64 v[8:9], v[22:23], v[8:9], s[14:15]
	s_mov_b32 s15, 0xbfc55555
	s_mov_b32 s14, s12
	v_fma_f64 v[4:5], v[6:7], v[18:19], -v[4:5]
	v_add_f64 v[26:27], v[28:29], -v[26:27]
	v_mul_f64 v[28:29], v[14:15], 0.5
	v_mul_f64 v[18:19], v[12:13], -v[22:23]
	v_fma_f64 v[4:5], v[30:31], s[14:15], v[4:5]
	v_fma_f64 v[26:27], v[12:13], -v[14:15], v[26:27]
	v_fma_f64 v[8:9], v[18:19], v[8:9], v[28:29]
	v_mov_b32_e32 v29, s5
	v_mov_b32_e32 v28, s4
	v_fma_f64 v[30:31], v[6:7], s[8:9], v[28:29]
	s_mov_b32 s4, 0xa17f65f6
	s_mov_b32 s5, 0xbe927e4f
	v_fma_f64 v[28:29], v[22:23], s[8:9], v[28:29]
	s_mov_b32 s8, 0x19f4ec90
	s_mov_b32 s9, 0x3efa01a0
	v_add_f64 v[0:1], v[0:1], -v[4:5]
	v_fma_f64 v[4:5], v[22:23], v[8:9], -v[14:15]
	v_fma_f64 v[30:31], v[6:7], v[30:31], s[4:5]
	v_and_b32_e32 v14, 1, v16
	v_cmp_eq_u32_e32 vcc, 0, v14
	v_fma_f64 v[28:29], v[22:23], v[28:29], s[4:5]
	s_mov_b32 s4, 0x16c16967
	s_mov_b32 s5, 0xbf56c16c
	v_xor_b32_e32 v1, 0x80000000, v1
	v_fma_f64 v[4:5], v[18:19], s[14:15], v[4:5]
	v_fma_f64 v[30:31], v[6:7], v[30:31], s[8:9]
	;; [unrolled: 1-line block ×3, first 2 shown]
	v_add_f64 v[4:5], v[12:13], -v[4:5]
	v_fma_f64 v[30:31], v[6:7], v[30:31], s[4:5]
	v_fma_f64 v[28:29], v[22:23], v[28:29], s[4:5]
	s_movk_i32 s4, 0x1f8
	v_fma_f64 v[30:31], v[6:7], v[30:31], s[12:13]
	v_mul_f64 v[6:7], v[6:7], v[6:7]
	v_fma_f64 v[28:29], v[22:23], v[28:29], s[12:13]
	v_fma_f64 v[6:7], v[6:7], v[30:31], v[10:11]
	v_mul_f64 v[10:11], v[22:23], v[22:23]
	v_add_f64 v[6:7], v[20:21], v[6:7]
	v_fma_f64 v[8:9], v[10:11], v[28:29], v[26:27]
	v_cndmask_b32_e32 v0, v0, v6, vcc
	v_cndmask_b32_e32 v1, v1, v7, vcc
	v_add_f64 v[6:7], v[24:25], v[8:9]
	v_cmp_class_f64_e64 vcc, v[2:3], s4
	v_lshlrev_b32_e32 v2, 30, v16
	v_and_b32_e32 v2, 0x80000000, v2
	v_xor_b32_e32 v1, v1, v2
	v_and_b32_e32 v2, 1, v17
	v_cmp_eq_u32_e64 s[4:5], 0, v2
	v_mov_b32_e32 v8, 0x7ff80000
	v_cndmask_b32_e64 v2, v6, v4, s[4:5]
	v_cndmask_b32_e64 v4, v7, v5, s[4:5]
	v_lshlrev_b32_e32 v5, 30, v17
	v_xor_b32_e32 v3, v5, v3
	v_and_b32_e32 v3, 0x80000000, v3
	v_xor_b32_e32 v3, v4, v3
	v_cndmask_b32_e32 v0, 0, v0, vcc
	v_cndmask_b32_e32 v1, v8, v1, vcc
	;; [unrolled: 1-line block ×4, first 2 shown]
.LBB36_77:
	s_or_b64 exec, exec, s[6:7]
                                        ; implicit-def: $vgpr4_vgpr5
	s_andn2_saveexec_b64 s[6:7], s[10:11]
	s_cbranch_execnz .LBB36_41
.LBB36_78:
	s_or_b64 exec, exec, s[6:7]
	s_setpc_b64 s[30:31]
.Lfunc_end36:
	.size	_ZN16c10_complex_math3powIdEEN3c107complexIT_EERKS4_S6_, .Lfunc_end36-_ZN16c10_complex_math3powIdEEN3c107complexIT_EERKS4_S6_
                                        ; -- End function
	.set .L_ZN16c10_complex_math3powIdEEN3c107complexIT_EERKS4_S6_.num_vgpr, 38
	.set .L_ZN16c10_complex_math3powIdEEN3c107complexIT_EERKS4_S6_.num_agpr, 0
	.set .L_ZN16c10_complex_math3powIdEEN3c107complexIT_EERKS4_S6_.numbered_sgpr, 43
	.set .L_ZN16c10_complex_math3powIdEEN3c107complexIT_EERKS4_S6_.num_named_barrier, 0
	.set .L_ZN16c10_complex_math3powIdEEN3c107complexIT_EERKS4_S6_.private_seg_size, 0
	.set .L_ZN16c10_complex_math3powIdEEN3c107complexIT_EERKS4_S6_.uses_vcc, 1
	.set .L_ZN16c10_complex_math3powIdEEN3c107complexIT_EERKS4_S6_.uses_flat_scratch, 0
	.set .L_ZN16c10_complex_math3powIdEEN3c107complexIT_EERKS4_S6_.has_dyn_sized_stack, 0
	.set .L_ZN16c10_complex_math3powIdEEN3c107complexIT_EERKS4_S6_.has_recursion, 0
	.set .L_ZN16c10_complex_math3powIdEEN3c107complexIT_EERKS4_S6_.has_indirect_call, 0
	.section	.AMDGPU.csdata,"",@progbits
; Function info:
; codeLenInByte = 22940
; TotalNumSgprs: 47
; NumVgprs: 38
; ScratchSize: 0
; MemoryBound: 0
	.section	.text._ZN12_GLOBAL__N_141elementwise_kernel_with_index_grid_strideIiZZZN2at6native17logspace_cuda_outERKN3c106ScalarES6_ldRNS1_6TensorEENKUlvE0_clEvENKUlvE1_clEvEUllE_EEvT_T0_PN15function_traitsISD_E11result_typeE,"axG",@progbits,_ZN12_GLOBAL__N_141elementwise_kernel_with_index_grid_strideIiZZZN2at6native17logspace_cuda_outERKN3c106ScalarES6_ldRNS1_6TensorEENKUlvE0_clEvENKUlvE1_clEvEUllE_EEvT_T0_PN15function_traitsISD_E11result_typeE,comdat
	.globl	_ZN12_GLOBAL__N_141elementwise_kernel_with_index_grid_strideIiZZZN2at6native17logspace_cuda_outERKN3c106ScalarES6_ldRNS1_6TensorEENKUlvE0_clEvENKUlvE1_clEvEUllE_EEvT_T0_PN15function_traitsISD_E11result_typeE ; -- Begin function _ZN12_GLOBAL__N_141elementwise_kernel_with_index_grid_strideIiZZZN2at6native17logspace_cuda_outERKN3c106ScalarES6_ldRNS1_6TensorEENKUlvE0_clEvENKUlvE1_clEvEUllE_EEvT_T0_PN15function_traitsISD_E11result_typeE
	.p2align	8
	.type	_ZN12_GLOBAL__N_141elementwise_kernel_with_index_grid_strideIiZZZN2at6native17logspace_cuda_outERKN3c106ScalarES6_ldRNS1_6TensorEENKUlvE0_clEvENKUlvE1_clEvEUllE_EEvT_T0_PN15function_traitsISD_E11result_typeE,@function
_ZN12_GLOBAL__N_141elementwise_kernel_with_index_grid_strideIiZZZN2at6native17logspace_cuda_outERKN3c106ScalarES6_ldRNS1_6TensorEENKUlvE0_clEvENKUlvE1_clEvEUllE_EEvT_T0_PN15function_traitsISD_E11result_typeE: ; @_ZN12_GLOBAL__N_141elementwise_kernel_with_index_grid_strideIiZZZN2at6native17logspace_cuda_outERKN3c106ScalarES6_ldRNS1_6TensorEENKUlvE0_clEvENKUlvE1_clEvEUllE_EEvT_T0_PN15function_traitsISD_E11result_typeE
; %bb.0:
	s_add_u32 s0, s0, s7
	s_load_dword s7, s[4:5], 0x84
	s_load_dword s33, s[4:5], 0x0
	s_addc_u32 s1, s1, 0
	s_add_u32 s8, s4, 0x78
	s_addc_u32 s9, s5, 0
	s_waitcnt lgkmcnt(0)
	s_and_b32 s7, s7, 0xffff
	s_mul_i32 s6, s6, s7
	v_add_u32_e32 v38, s6, v0
	v_cmp_gt_i32_e32 vcc, s33, v38
	s_mov_b32 s32, 0
	s_and_saveexec_b64 s[10:11], vcc
	s_cbranch_execz .LBB37_7
; %bb.1:
	s_load_dwordx2 s[10:11], s[4:5], 0x70
	s_load_dword s6, s[8:9], 0x0
	s_load_dwordx8 s[44:51], s[4:5], 0x10
	s_load_dwordx8 s[52:59], s[4:5], 0x30
	s_load_dwordx2 s[34:35], s[4:5], 0x60
	s_load_dwordx4 s[36:39], s[4:5], 0x50
	v_ashrrev_i32_e32 v39, 31, v38
	v_not_b32_e32 v1, v38
	v_not_b32_e32 v0, v39
	s_waitcnt lgkmcnt(0)
	v_mov_b32_e32 v2, s57
	v_add_co_u32_e32 v42, vcc, s56, v1
	v_addc_co_u32_e32 v43, vcc, v0, v2, vcc
	v_lshlrev_b64 v[0:1], 4, v[38:39]
	v_mov_b32_e32 v2, s11
	v_add_co_u32_e32 v0, vcc, s10, v0
	s_mul_i32 s58, s6, s7
	v_addc_co_u32_e32 v1, vcc, v2, v1, vcc
	s_ashr_i32 s59, s58, 31
	v_add_co_u32_e32 v40, vcc, 8, v0
	v_addc_co_u32_e32 v41, vcc, 0, v1, vcc
	s_lshl_b64 s[56:57], s[58:59], 4
	s_mov_b64 s[60:61], 0
	s_branch .LBB37_3
.LBB37_2:                               ;   in Loop: Header=BB37_3 Depth=1
	s_or_b64 exec, exec, s[62:63]
	global_store_dwordx4 v[40:41], v[0:3], off offset:-8
	v_add_co_u32_e32 v38, vcc, s58, v38
	v_mov_b32_e32 v0, s59
	v_addc_co_u32_e32 v39, vcc, v39, v0, vcc
	v_subrev_co_u32_e32 v42, vcc, s58, v42
	v_subb_co_u32_e32 v43, vcc, v43, v0, vcc
	v_cmp_le_i32_e32 vcc, s33, v38
	v_mov_b32_e32 v0, s57
	s_or_b64 s[60:61], vcc, s[60:61]
	v_add_co_u32_e32 v40, vcc, s56, v40
	v_addc_co_u32_e32 v41, vcc, v41, v0, vcc
	s_andn2_b64 exec, exec, s[60:61]
	s_cbranch_execz .LBB37_7
.LBB37_3:                               ; =>This Inner Loop Header: Depth=1
	v_cmp_le_i64_e32 vcc, s[34:35], v[38:39]
                                        ; implicit-def: $vgpr0_vgpr1
	s_and_saveexec_b64 s[4:5], vcc
	s_xor_b64 s[62:63], exec, s[4:5]
	s_cbranch_execz .LBB37_5
; %bb.4:                                ;   in Loop: Header=BB37_3 Depth=1
	v_cvt_f64_i32_e32 v[0:1], v43
	v_cvt_f64_u32_e32 v[2:3], v42
	v_mov_b32_e32 v6, s50
	v_mov_b32_e32 v7, s51
	v_ldexp_f64 v[0:1], v[0:1], 32
	s_getpc_b64 s[4:5]
	s_add_u32 s4, s4, _ZN16c10_complex_math3powIdEEN3c107complexIT_EERKS4_S6_@rel32@lo+4
	s_addc_u32 s5, s5, _ZN16c10_complex_math3powIdEEN3c107complexIT_EERKS4_S6_@rel32@hi+12
	v_add_f64 v[0:1], v[0:1], v[2:3]
	v_mov_b32_e32 v2, s48
	v_mov_b32_e32 v3, s49
	v_fma_f64 v[4:5], -s[36:37], v[0:1], v[2:3]
	v_fma_f64 v[6:7], -s[38:39], v[0:1], v[6:7]
	v_mov_b32_e32 v0, s52
	v_mov_b32_e32 v1, s53
	;; [unrolled: 1-line block ×4, first 2 shown]
	s_swappc_b64 s[30:31], s[4:5]
.LBB37_5:                               ;   in Loop: Header=BB37_3 Depth=1
	s_andn2_saveexec_b64 s[62:63], s[62:63]
	s_cbranch_execz .LBB37_2
; %bb.6:                                ;   in Loop: Header=BB37_3 Depth=1
	v_cvt_f64_i32_e32 v[0:1], v38
	v_mov_b32_e32 v2, s44
	v_mov_b32_e32 v6, s46
	;; [unrolled: 1-line block ×4, first 2 shown]
	v_fma_f64 v[4:5], s[36:37], v[0:1], v[2:3]
	v_fma_f64 v[6:7], s[38:39], v[0:1], v[6:7]
	s_getpc_b64 s[4:5]
	s_add_u32 s4, s4, _ZN16c10_complex_math3powIdEEN3c107complexIT_EERKS4_S6_@rel32@lo+4
	s_addc_u32 s5, s5, _ZN16c10_complex_math3powIdEEN3c107complexIT_EERKS4_S6_@rel32@hi+12
	v_mov_b32_e32 v0, s52
	v_mov_b32_e32 v1, s53
	;; [unrolled: 1-line block ×4, first 2 shown]
	s_swappc_b64 s[30:31], s[4:5]
	s_branch .LBB37_2
.LBB37_7:
	s_endpgm
	.section	.rodata,"a",@progbits
	.p2align	6, 0x0
	.amdhsa_kernel _ZN12_GLOBAL__N_141elementwise_kernel_with_index_grid_strideIiZZZN2at6native17logspace_cuda_outERKN3c106ScalarES6_ldRNS1_6TensorEENKUlvE0_clEvENKUlvE1_clEvEUllE_EEvT_T0_PN15function_traitsISD_E11result_typeE
		.amdhsa_group_segment_fixed_size 0
		.amdhsa_private_segment_fixed_size 0
		.amdhsa_kernarg_size 376
		.amdhsa_user_sgpr_count 6
		.amdhsa_user_sgpr_private_segment_buffer 1
		.amdhsa_user_sgpr_dispatch_ptr 0
		.amdhsa_user_sgpr_queue_ptr 0
		.amdhsa_user_sgpr_kernarg_segment_ptr 1
		.amdhsa_user_sgpr_dispatch_id 0
		.amdhsa_user_sgpr_flat_scratch_init 0
		.amdhsa_user_sgpr_private_segment_size 0
		.amdhsa_uses_dynamic_stack 0
		.amdhsa_system_sgpr_private_segment_wavefront_offset 0
		.amdhsa_system_sgpr_workgroup_id_x 1
		.amdhsa_system_sgpr_workgroup_id_y 0
		.amdhsa_system_sgpr_workgroup_id_z 0
		.amdhsa_system_sgpr_workgroup_info 0
		.amdhsa_system_vgpr_workitem_id 0
		.amdhsa_next_free_vgpr 44
		.amdhsa_next_free_sgpr 64
		.amdhsa_reserve_vcc 1
		.amdhsa_reserve_flat_scratch 0
		.amdhsa_float_round_mode_32 0
		.amdhsa_float_round_mode_16_64 0
		.amdhsa_float_denorm_mode_32 3
		.amdhsa_float_denorm_mode_16_64 3
		.amdhsa_dx10_clamp 1
		.amdhsa_ieee_mode 1
		.amdhsa_fp16_overflow 0
		.amdhsa_exception_fp_ieee_invalid_op 0
		.amdhsa_exception_fp_denorm_src 0
		.amdhsa_exception_fp_ieee_div_zero 0
		.amdhsa_exception_fp_ieee_overflow 0
		.amdhsa_exception_fp_ieee_underflow 0
		.amdhsa_exception_fp_ieee_inexact 0
		.amdhsa_exception_int_div_zero 0
	.end_amdhsa_kernel
	.section	.text._ZN12_GLOBAL__N_141elementwise_kernel_with_index_grid_strideIiZZZN2at6native17logspace_cuda_outERKN3c106ScalarES6_ldRNS1_6TensorEENKUlvE0_clEvENKUlvE1_clEvEUllE_EEvT_T0_PN15function_traitsISD_E11result_typeE,"axG",@progbits,_ZN12_GLOBAL__N_141elementwise_kernel_with_index_grid_strideIiZZZN2at6native17logspace_cuda_outERKN3c106ScalarES6_ldRNS1_6TensorEENKUlvE0_clEvENKUlvE1_clEvEUllE_EEvT_T0_PN15function_traitsISD_E11result_typeE,comdat
.Lfunc_end37:
	.size	_ZN12_GLOBAL__N_141elementwise_kernel_with_index_grid_strideIiZZZN2at6native17logspace_cuda_outERKN3c106ScalarES6_ldRNS1_6TensorEENKUlvE0_clEvENKUlvE1_clEvEUllE_EEvT_T0_PN15function_traitsISD_E11result_typeE, .Lfunc_end37-_ZN12_GLOBAL__N_141elementwise_kernel_with_index_grid_strideIiZZZN2at6native17logspace_cuda_outERKN3c106ScalarES6_ldRNS1_6TensorEENKUlvE0_clEvENKUlvE1_clEvEUllE_EEvT_T0_PN15function_traitsISD_E11result_typeE
                                        ; -- End function
	.set _ZN12_GLOBAL__N_141elementwise_kernel_with_index_grid_strideIiZZZN2at6native17logspace_cuda_outERKN3c106ScalarES6_ldRNS1_6TensorEENKUlvE0_clEvENKUlvE1_clEvEUllE_EEvT_T0_PN15function_traitsISD_E11result_typeE.num_vgpr, max(44, .L_ZN16c10_complex_math3powIdEEN3c107complexIT_EERKS4_S6_.num_vgpr)
	.set _ZN12_GLOBAL__N_141elementwise_kernel_with_index_grid_strideIiZZZN2at6native17logspace_cuda_outERKN3c106ScalarES6_ldRNS1_6TensorEENKUlvE0_clEvENKUlvE1_clEvEUllE_EEvT_T0_PN15function_traitsISD_E11result_typeE.num_agpr, max(0, .L_ZN16c10_complex_math3powIdEEN3c107complexIT_EERKS4_S6_.num_agpr)
	.set _ZN12_GLOBAL__N_141elementwise_kernel_with_index_grid_strideIiZZZN2at6native17logspace_cuda_outERKN3c106ScalarES6_ldRNS1_6TensorEENKUlvE0_clEvENKUlvE1_clEvEUllE_EEvT_T0_PN15function_traitsISD_E11result_typeE.numbered_sgpr, max(64, .L_ZN16c10_complex_math3powIdEEN3c107complexIT_EERKS4_S6_.numbered_sgpr)
	.set _ZN12_GLOBAL__N_141elementwise_kernel_with_index_grid_strideIiZZZN2at6native17logspace_cuda_outERKN3c106ScalarES6_ldRNS1_6TensorEENKUlvE0_clEvENKUlvE1_clEvEUllE_EEvT_T0_PN15function_traitsISD_E11result_typeE.num_named_barrier, max(0, .L_ZN16c10_complex_math3powIdEEN3c107complexIT_EERKS4_S6_.num_named_barrier)
	.set _ZN12_GLOBAL__N_141elementwise_kernel_with_index_grid_strideIiZZZN2at6native17logspace_cuda_outERKN3c106ScalarES6_ldRNS1_6TensorEENKUlvE0_clEvENKUlvE1_clEvEUllE_EEvT_T0_PN15function_traitsISD_E11result_typeE.private_seg_size, 0+max(.L_ZN16c10_complex_math3powIdEEN3c107complexIT_EERKS4_S6_.private_seg_size)
	.set _ZN12_GLOBAL__N_141elementwise_kernel_with_index_grid_strideIiZZZN2at6native17logspace_cuda_outERKN3c106ScalarES6_ldRNS1_6TensorEENKUlvE0_clEvENKUlvE1_clEvEUllE_EEvT_T0_PN15function_traitsISD_E11result_typeE.uses_vcc, or(1, .L_ZN16c10_complex_math3powIdEEN3c107complexIT_EERKS4_S6_.uses_vcc)
	.set _ZN12_GLOBAL__N_141elementwise_kernel_with_index_grid_strideIiZZZN2at6native17logspace_cuda_outERKN3c106ScalarES6_ldRNS1_6TensorEENKUlvE0_clEvENKUlvE1_clEvEUllE_EEvT_T0_PN15function_traitsISD_E11result_typeE.uses_flat_scratch, or(0, .L_ZN16c10_complex_math3powIdEEN3c107complexIT_EERKS4_S6_.uses_flat_scratch)
	.set _ZN12_GLOBAL__N_141elementwise_kernel_with_index_grid_strideIiZZZN2at6native17logspace_cuda_outERKN3c106ScalarES6_ldRNS1_6TensorEENKUlvE0_clEvENKUlvE1_clEvEUllE_EEvT_T0_PN15function_traitsISD_E11result_typeE.has_dyn_sized_stack, or(0, .L_ZN16c10_complex_math3powIdEEN3c107complexIT_EERKS4_S6_.has_dyn_sized_stack)
	.set _ZN12_GLOBAL__N_141elementwise_kernel_with_index_grid_strideIiZZZN2at6native17logspace_cuda_outERKN3c106ScalarES6_ldRNS1_6TensorEENKUlvE0_clEvENKUlvE1_clEvEUllE_EEvT_T0_PN15function_traitsISD_E11result_typeE.has_recursion, or(0, .L_ZN16c10_complex_math3powIdEEN3c107complexIT_EERKS4_S6_.has_recursion)
	.set _ZN12_GLOBAL__N_141elementwise_kernel_with_index_grid_strideIiZZZN2at6native17logspace_cuda_outERKN3c106ScalarES6_ldRNS1_6TensorEENKUlvE0_clEvENKUlvE1_clEvEUllE_EEvT_T0_PN15function_traitsISD_E11result_typeE.has_indirect_call, or(0, .L_ZN16c10_complex_math3powIdEEN3c107complexIT_EERKS4_S6_.has_indirect_call)
	.section	.AMDGPU.csdata,"",@progbits
; Kernel info:
; codeLenInByte = 460
; TotalNumSgprs: 68
; NumVgprs: 44
; ScratchSize: 0
; MemoryBound: 0
; FloatMode: 240
; IeeeMode: 1
; LDSByteSize: 0 bytes/workgroup (compile time only)
; SGPRBlocks: 8
; VGPRBlocks: 10
; NumSGPRsForWavesPerEU: 68
; NumVGPRsForWavesPerEU: 44
; Occupancy: 5
; WaveLimiterHint : 1
; COMPUTE_PGM_RSRC2:SCRATCH_EN: 0
; COMPUTE_PGM_RSRC2:USER_SGPR: 6
; COMPUTE_PGM_RSRC2:TRAP_HANDLER: 0
; COMPUTE_PGM_RSRC2:TGID_X_EN: 1
; COMPUTE_PGM_RSRC2:TGID_Y_EN: 0
; COMPUTE_PGM_RSRC2:TGID_Z_EN: 0
; COMPUTE_PGM_RSRC2:TIDIG_COMP_CNT: 0
	.section	.text._ZN12_GLOBAL__N_141elementwise_kernel_with_index_grid_strideIlZZZN2at6native17logspace_cuda_outERKN3c106ScalarES6_ldRNS1_6TensorEENKUlvE0_clEvENKUlvE1_clEvEUllE_EEvT_T0_PN15function_traitsISD_E11result_typeE,"axG",@progbits,_ZN12_GLOBAL__N_141elementwise_kernel_with_index_grid_strideIlZZZN2at6native17logspace_cuda_outERKN3c106ScalarES6_ldRNS1_6TensorEENKUlvE0_clEvENKUlvE1_clEvEUllE_EEvT_T0_PN15function_traitsISD_E11result_typeE,comdat
	.globl	_ZN12_GLOBAL__N_141elementwise_kernel_with_index_grid_strideIlZZZN2at6native17logspace_cuda_outERKN3c106ScalarES6_ldRNS1_6TensorEENKUlvE0_clEvENKUlvE1_clEvEUllE_EEvT_T0_PN15function_traitsISD_E11result_typeE ; -- Begin function _ZN12_GLOBAL__N_141elementwise_kernel_with_index_grid_strideIlZZZN2at6native17logspace_cuda_outERKN3c106ScalarES6_ldRNS1_6TensorEENKUlvE0_clEvENKUlvE1_clEvEUllE_EEvT_T0_PN15function_traitsISD_E11result_typeE
	.p2align	8
	.type	_ZN12_GLOBAL__N_141elementwise_kernel_with_index_grid_strideIlZZZN2at6native17logspace_cuda_outERKN3c106ScalarES6_ldRNS1_6TensorEENKUlvE0_clEvENKUlvE1_clEvEUllE_EEvT_T0_PN15function_traitsISD_E11result_typeE,@function
_ZN12_GLOBAL__N_141elementwise_kernel_with_index_grid_strideIlZZZN2at6native17logspace_cuda_outERKN3c106ScalarES6_ldRNS1_6TensorEENKUlvE0_clEvENKUlvE1_clEvEUllE_EEvT_T0_PN15function_traitsISD_E11result_typeE: ; @_ZN12_GLOBAL__N_141elementwise_kernel_with_index_grid_strideIlZZZN2at6native17logspace_cuda_outERKN3c106ScalarES6_ldRNS1_6TensorEENKUlvE0_clEvENKUlvE1_clEvEUllE_EEvT_T0_PN15function_traitsISD_E11result_typeE
; %bb.0:
	s_add_u32 s0, s0, s7
	s_load_dword s7, s[4:5], 0x84
	s_load_dwordx2 s[34:35], s[4:5], 0x0
	s_addc_u32 s1, s1, 0
	s_add_u32 s8, s4, 0x78
	s_addc_u32 s9, s5, 0
	s_waitcnt lgkmcnt(0)
	s_and_b32 s7, s7, 0xffff
	v_mov_b32_e32 v1, 0
	v_mov_b32_e32 v2, s6
	v_mad_u64_u32 v[38:39], s[10:11], s7, v2, v[0:1]
	s_mov_b32 s32, 0
	v_cmp_gt_i64_e32 vcc, s[34:35], v[38:39]
	s_and_saveexec_b64 s[10:11], vcc
	s_cbranch_execz .LBB38_7
; %bb.1:
	s_load_dwordx2 s[10:11], s[4:5], 0x70
	s_load_dword s6, s[8:9], 0x0
	s_load_dwordx8 s[44:51], s[4:5], 0x10
	s_load_dwordx8 s[52:59], s[4:5], 0x30
	v_not_b32_e32 v1, v38
	v_not_b32_e32 v0, v39
	s_waitcnt lgkmcnt(0)
	s_load_dwordx2 s[58:59], s[4:5], 0x60
	s_load_dwordx4 s[36:39], s[4:5], 0x50
	s_mul_hi_u32 s61, s7, s6
	v_mov_b32_e32 v2, s57
	v_add_co_u32_e32 v42, vcc, s56, v1
	v_addc_co_u32_e32 v43, vcc, v0, v2, vcc
	v_lshlrev_b64 v[0:1], 4, v[38:39]
	v_mov_b32_e32 v2, s11
	v_add_co_u32_e32 v0, vcc, s10, v0
	v_addc_co_u32_e32 v1, vcc, v2, v1, vcc
	s_mul_i32 s60, s7, s6
	v_add_co_u32_e32 v40, vcc, 8, v0
	v_addc_co_u32_e32 v41, vcc, 0, v1, vcc
	s_lshl_b64 s[56:57], s[60:61], 4
	s_mov_b64 s[62:63], 0
                                        ; kill: killed $sgpr8 killed $sgpr9
                                        ; kill: killed $sgpr4 killed $sgpr5
	s_branch .LBB38_3
.LBB38_2:                               ;   in Loop: Header=BB38_3 Depth=1
	s_or_b64 exec, exec, s[64:65]
	global_store_dwordx4 v[40:41], v[0:3], off offset:-8
	v_add_co_u32_e32 v38, vcc, s60, v38
	v_mov_b32_e32 v0, s61
	v_addc_co_u32_e32 v39, vcc, v39, v0, vcc
	v_subrev_co_u32_e32 v42, vcc, s60, v42
	v_subb_co_u32_e32 v43, vcc, v43, v0, vcc
	v_cmp_le_i64_e32 vcc, s[34:35], v[38:39]
	v_mov_b32_e32 v0, s57
	s_or_b64 s[62:63], vcc, s[62:63]
	v_add_co_u32_e32 v40, vcc, s56, v40
	v_addc_co_u32_e32 v41, vcc, v41, v0, vcc
	s_andn2_b64 exec, exec, s[62:63]
	s_cbranch_execz .LBB38_7
.LBB38_3:                               ; =>This Inner Loop Header: Depth=1
	s_waitcnt lgkmcnt(0)
	v_cmp_le_i64_e32 vcc, s[58:59], v[38:39]
                                        ; implicit-def: $vgpr0_vgpr1
	s_and_saveexec_b64 s[4:5], vcc
	s_xor_b64 s[64:65], exec, s[4:5]
	s_cbranch_execz .LBB38_5
; %bb.4:                                ;   in Loop: Header=BB38_3 Depth=1
	v_cvt_f64_i32_e32 v[0:1], v43
	v_cvt_f64_u32_e32 v[2:3], v42
	v_mov_b32_e32 v6, s50
	v_mov_b32_e32 v7, s51
	v_ldexp_f64 v[0:1], v[0:1], 32
	s_getpc_b64 s[4:5]
	s_add_u32 s4, s4, _ZN16c10_complex_math3powIdEEN3c107complexIT_EERKS4_S6_@rel32@lo+4
	s_addc_u32 s5, s5, _ZN16c10_complex_math3powIdEEN3c107complexIT_EERKS4_S6_@rel32@hi+12
	v_add_f64 v[0:1], v[0:1], v[2:3]
	v_mov_b32_e32 v2, s48
	v_mov_b32_e32 v3, s49
	v_fma_f64 v[4:5], -s[36:37], v[0:1], v[2:3]
	v_fma_f64 v[6:7], -s[38:39], v[0:1], v[6:7]
	v_mov_b32_e32 v0, s52
	v_mov_b32_e32 v1, s53
	;; [unrolled: 1-line block ×4, first 2 shown]
	s_swappc_b64 s[30:31], s[4:5]
.LBB38_5:                               ;   in Loop: Header=BB38_3 Depth=1
	s_andn2_saveexec_b64 s[64:65], s[64:65]
	s_cbranch_execz .LBB38_2
; %bb.6:                                ;   in Loop: Header=BB38_3 Depth=1
	v_cvt_f64_u32_e32 v[0:1], v39
	v_cvt_f64_u32_e32 v[2:3], v38
	v_mov_b32_e32 v6, s46
	v_mov_b32_e32 v7, s47
	v_ldexp_f64 v[0:1], v[0:1], 32
	s_getpc_b64 s[4:5]
	s_add_u32 s4, s4, _ZN16c10_complex_math3powIdEEN3c107complexIT_EERKS4_S6_@rel32@lo+4
	s_addc_u32 s5, s5, _ZN16c10_complex_math3powIdEEN3c107complexIT_EERKS4_S6_@rel32@hi+12
	v_add_f64 v[0:1], v[0:1], v[2:3]
	v_mov_b32_e32 v2, s44
	v_mov_b32_e32 v3, s45
	v_fma_f64 v[4:5], s[36:37], v[0:1], v[2:3]
	v_fma_f64 v[6:7], s[38:39], v[0:1], v[6:7]
	v_mov_b32_e32 v0, s52
	v_mov_b32_e32 v1, s53
	;; [unrolled: 1-line block ×4, first 2 shown]
	s_swappc_b64 s[30:31], s[4:5]
	s_branch .LBB38_2
.LBB38_7:
	s_endpgm
	.section	.rodata,"a",@progbits
	.p2align	6, 0x0
	.amdhsa_kernel _ZN12_GLOBAL__N_141elementwise_kernel_with_index_grid_strideIlZZZN2at6native17logspace_cuda_outERKN3c106ScalarES6_ldRNS1_6TensorEENKUlvE0_clEvENKUlvE1_clEvEUllE_EEvT_T0_PN15function_traitsISD_E11result_typeE
		.amdhsa_group_segment_fixed_size 0
		.amdhsa_private_segment_fixed_size 0
		.amdhsa_kernarg_size 376
		.amdhsa_user_sgpr_count 6
		.amdhsa_user_sgpr_private_segment_buffer 1
		.amdhsa_user_sgpr_dispatch_ptr 0
		.amdhsa_user_sgpr_queue_ptr 0
		.amdhsa_user_sgpr_kernarg_segment_ptr 1
		.amdhsa_user_sgpr_dispatch_id 0
		.amdhsa_user_sgpr_flat_scratch_init 0
		.amdhsa_user_sgpr_private_segment_size 0
		.amdhsa_uses_dynamic_stack 0
		.amdhsa_system_sgpr_private_segment_wavefront_offset 0
		.amdhsa_system_sgpr_workgroup_id_x 1
		.amdhsa_system_sgpr_workgroup_id_y 0
		.amdhsa_system_sgpr_workgroup_id_z 0
		.amdhsa_system_sgpr_workgroup_info 0
		.amdhsa_system_vgpr_workitem_id 0
		.amdhsa_next_free_vgpr 44
		.amdhsa_next_free_sgpr 66
		.amdhsa_reserve_vcc 1
		.amdhsa_reserve_flat_scratch 0
		.amdhsa_float_round_mode_32 0
		.amdhsa_float_round_mode_16_64 0
		.amdhsa_float_denorm_mode_32 3
		.amdhsa_float_denorm_mode_16_64 3
		.amdhsa_dx10_clamp 1
		.amdhsa_ieee_mode 1
		.amdhsa_fp16_overflow 0
		.amdhsa_exception_fp_ieee_invalid_op 0
		.amdhsa_exception_fp_denorm_src 0
		.amdhsa_exception_fp_ieee_div_zero 0
		.amdhsa_exception_fp_ieee_overflow 0
		.amdhsa_exception_fp_ieee_underflow 0
		.amdhsa_exception_fp_ieee_inexact 0
		.amdhsa_exception_int_div_zero 0
	.end_amdhsa_kernel
	.section	.text._ZN12_GLOBAL__N_141elementwise_kernel_with_index_grid_strideIlZZZN2at6native17logspace_cuda_outERKN3c106ScalarES6_ldRNS1_6TensorEENKUlvE0_clEvENKUlvE1_clEvEUllE_EEvT_T0_PN15function_traitsISD_E11result_typeE,"axG",@progbits,_ZN12_GLOBAL__N_141elementwise_kernel_with_index_grid_strideIlZZZN2at6native17logspace_cuda_outERKN3c106ScalarES6_ldRNS1_6TensorEENKUlvE0_clEvENKUlvE1_clEvEUllE_EEvT_T0_PN15function_traitsISD_E11result_typeE,comdat
.Lfunc_end38:
	.size	_ZN12_GLOBAL__N_141elementwise_kernel_with_index_grid_strideIlZZZN2at6native17logspace_cuda_outERKN3c106ScalarES6_ldRNS1_6TensorEENKUlvE0_clEvENKUlvE1_clEvEUllE_EEvT_T0_PN15function_traitsISD_E11result_typeE, .Lfunc_end38-_ZN12_GLOBAL__N_141elementwise_kernel_with_index_grid_strideIlZZZN2at6native17logspace_cuda_outERKN3c106ScalarES6_ldRNS1_6TensorEENKUlvE0_clEvENKUlvE1_clEvEUllE_EEvT_T0_PN15function_traitsISD_E11result_typeE
                                        ; -- End function
	.set _ZN12_GLOBAL__N_141elementwise_kernel_with_index_grid_strideIlZZZN2at6native17logspace_cuda_outERKN3c106ScalarES6_ldRNS1_6TensorEENKUlvE0_clEvENKUlvE1_clEvEUllE_EEvT_T0_PN15function_traitsISD_E11result_typeE.num_vgpr, max(44, .L_ZN16c10_complex_math3powIdEEN3c107complexIT_EERKS4_S6_.num_vgpr)
	.set _ZN12_GLOBAL__N_141elementwise_kernel_with_index_grid_strideIlZZZN2at6native17logspace_cuda_outERKN3c106ScalarES6_ldRNS1_6TensorEENKUlvE0_clEvENKUlvE1_clEvEUllE_EEvT_T0_PN15function_traitsISD_E11result_typeE.num_agpr, max(0, .L_ZN16c10_complex_math3powIdEEN3c107complexIT_EERKS4_S6_.num_agpr)
	.set _ZN12_GLOBAL__N_141elementwise_kernel_with_index_grid_strideIlZZZN2at6native17logspace_cuda_outERKN3c106ScalarES6_ldRNS1_6TensorEENKUlvE0_clEvENKUlvE1_clEvEUllE_EEvT_T0_PN15function_traitsISD_E11result_typeE.numbered_sgpr, max(66, .L_ZN16c10_complex_math3powIdEEN3c107complexIT_EERKS4_S6_.numbered_sgpr)
	.set _ZN12_GLOBAL__N_141elementwise_kernel_with_index_grid_strideIlZZZN2at6native17logspace_cuda_outERKN3c106ScalarES6_ldRNS1_6TensorEENKUlvE0_clEvENKUlvE1_clEvEUllE_EEvT_T0_PN15function_traitsISD_E11result_typeE.num_named_barrier, max(0, .L_ZN16c10_complex_math3powIdEEN3c107complexIT_EERKS4_S6_.num_named_barrier)
	.set _ZN12_GLOBAL__N_141elementwise_kernel_with_index_grid_strideIlZZZN2at6native17logspace_cuda_outERKN3c106ScalarES6_ldRNS1_6TensorEENKUlvE0_clEvENKUlvE1_clEvEUllE_EEvT_T0_PN15function_traitsISD_E11result_typeE.private_seg_size, 0+max(.L_ZN16c10_complex_math3powIdEEN3c107complexIT_EERKS4_S6_.private_seg_size)
	.set _ZN12_GLOBAL__N_141elementwise_kernel_with_index_grid_strideIlZZZN2at6native17logspace_cuda_outERKN3c106ScalarES6_ldRNS1_6TensorEENKUlvE0_clEvENKUlvE1_clEvEUllE_EEvT_T0_PN15function_traitsISD_E11result_typeE.uses_vcc, or(1, .L_ZN16c10_complex_math3powIdEEN3c107complexIT_EERKS4_S6_.uses_vcc)
	.set _ZN12_GLOBAL__N_141elementwise_kernel_with_index_grid_strideIlZZZN2at6native17logspace_cuda_outERKN3c106ScalarES6_ldRNS1_6TensorEENKUlvE0_clEvENKUlvE1_clEvEUllE_EEvT_T0_PN15function_traitsISD_E11result_typeE.uses_flat_scratch, or(0, .L_ZN16c10_complex_math3powIdEEN3c107complexIT_EERKS4_S6_.uses_flat_scratch)
	.set _ZN12_GLOBAL__N_141elementwise_kernel_with_index_grid_strideIlZZZN2at6native17logspace_cuda_outERKN3c106ScalarES6_ldRNS1_6TensorEENKUlvE0_clEvENKUlvE1_clEvEUllE_EEvT_T0_PN15function_traitsISD_E11result_typeE.has_dyn_sized_stack, or(0, .L_ZN16c10_complex_math3powIdEEN3c107complexIT_EERKS4_S6_.has_dyn_sized_stack)
	.set _ZN12_GLOBAL__N_141elementwise_kernel_with_index_grid_strideIlZZZN2at6native17logspace_cuda_outERKN3c106ScalarES6_ldRNS1_6TensorEENKUlvE0_clEvENKUlvE1_clEvEUllE_EEvT_T0_PN15function_traitsISD_E11result_typeE.has_recursion, or(0, .L_ZN16c10_complex_math3powIdEEN3c107complexIT_EERKS4_S6_.has_recursion)
	.set _ZN12_GLOBAL__N_141elementwise_kernel_with_index_grid_strideIlZZZN2at6native17logspace_cuda_outERKN3c106ScalarES6_ldRNS1_6TensorEENKUlvE0_clEvENKUlvE1_clEvEUllE_EEvT_T0_PN15function_traitsISD_E11result_typeE.has_indirect_call, or(0, .L_ZN16c10_complex_math3powIdEEN3c107complexIT_EERKS4_S6_.has_indirect_call)
	.section	.AMDGPU.csdata,"",@progbits
; Kernel info:
; codeLenInByte = 488
; TotalNumSgprs: 70
; NumVgprs: 44
; ScratchSize: 0
; MemoryBound: 0
; FloatMode: 240
; IeeeMode: 1
; LDSByteSize: 0 bytes/workgroup (compile time only)
; SGPRBlocks: 8
; VGPRBlocks: 10
; NumSGPRsForWavesPerEU: 70
; NumVGPRsForWavesPerEU: 44
; Occupancy: 5
; WaveLimiterHint : 1
; COMPUTE_PGM_RSRC2:SCRATCH_EN: 0
; COMPUTE_PGM_RSRC2:USER_SGPR: 6
; COMPUTE_PGM_RSRC2:TRAP_HANDLER: 0
; COMPUTE_PGM_RSRC2:TGID_X_EN: 1
; COMPUTE_PGM_RSRC2:TGID_Y_EN: 0
; COMPUTE_PGM_RSRC2:TGID_Z_EN: 0
; COMPUTE_PGM_RSRC2:TIDIG_COMP_CNT: 0
	.text
	.p2align	2                               ; -- Begin function _ZN16c10_complex_math3powIfEEN3c107complexIT_EERKS4_S6_
	.type	_ZN16c10_complex_math3powIfEEN3c107complexIT_EERKS4_S6_,@function
_ZN16c10_complex_math3powIfEEN3c107complexIT_EERKS4_S6_: ; @_ZN16c10_complex_math3powIfEEN3c107complexIT_EERKS4_S6_
; %bb.0:
	s_waitcnt vmcnt(0) expcnt(0) lgkmcnt(0)
	v_cmp_o_f32_e32 vcc, v0, v1
                                        ; implicit-def: $vgpr5
                                        ; implicit-def: $vgpr4
	s_and_saveexec_b64 s[4:5], vcc
	s_xor_b64 s[8:9], exec, s[4:5]
	s_cbranch_execz .LBB39_28
; %bb.1:
	v_cmp_lt_f32_e64 s[4:5], |v0|, |v1|
	v_cndmask_b32_e64 v6, |v1|, |v0|, s[4:5]
	s_mov_b32 s6, 0x77f684df
	v_cmp_nlt_f32_e32 vcc, s6, v6
                                        ; implicit-def: $vgpr5
                                        ; implicit-def: $vgpr4
	s_and_saveexec_b64 s[6:7], vcc
	s_xor_b64 s[10:11], exec, s[6:7]
	s_cbranch_execz .LBB39_25
; %bb.2:
	v_and_b32_e32 v4, 0x7fffffff, v1
	v_cndmask_b32_e64 v7, |v0|, v4, s[4:5]
	v_cmp_neq_f32_e32 vcc, 1.0, v7
                                        ; implicit-def: $vgpr5
                                        ; implicit-def: $vgpr4
	s_and_saveexec_b64 s[6:7], vcc
	s_xor_b64 s[12:13], exec, s[6:7]
	s_cbranch_execz .LBB39_18
; %bb.3:
	v_max_f32_e32 v4, v6, v6
	v_max_f32_e32 v5, v7, v7
	v_min_f32_e32 v8, v5, v4
	s_mov_b32 s6, 0x358637bd
	v_cmp_ngt_f32_e32 vcc, s6, v8
	v_max_f32_e32 v4, v5, v4
	s_mov_b32 s6, 0x49742400
	v_cmp_nlt_f32_e64 s[6:7], s6, v4
	s_and_b64 s[6:7], s[6:7], vcc
                                        ; implicit-def: $vgpr5
                                        ; implicit-def: $vgpr4
	s_and_saveexec_b64 s[14:15], s[6:7]
	s_xor_b64 s[14:15], exec, s[14:15]
	s_cbranch_execz .LBB39_15
; %bb.4:
	v_cmp_le_f32_e32 vcc, 1.0, v7
                                        ; implicit-def: $vgpr5
                                        ; implicit-def: $vgpr4
	s_and_saveexec_b64 s[6:7], vcc
	s_xor_b64 s[16:17], exec, s[6:7]
	s_cbranch_execz .LBB39_6
; %bb.5:
	v_add_f32_e32 v4, -1.0, v7
	v_add_f32_e32 v5, 1.0, v7
	v_mul_f32_e32 v7, v4, v5
	v_fmac_f32_e32 v7, v6, v6
	v_add_f32_e32 v6, 1.0, v7
	v_cvt_f64_f32_e32 v[4:5], v6
	s_mov_b32 s6, 0x3f2aaaab
	v_add_f32_e32 v8, -1.0, v6
	v_sub_f32_e32 v9, v8, v6
	v_frexp_exp_i32_f64_e32 v4, v[4:5]
	v_frexp_mant_f32_e32 v5, v6
	v_cmp_gt_f32_e32 vcc, s6, v5
	v_sub_f32_e32 v8, v7, v8
	v_add_f32_e32 v9, 1.0, v9
	v_add_f32_e32 v8, v8, v9
	s_mov_b32 s6, 0x3f317218
	s_movk_i32 s18, 0x204
	v_subbrev_co_u32_e32 v4, vcc, 0, v4, vcc
	v_sub_u32_e32 v5, 0, v4
	v_ldexp_f32 v6, v6, v5
	v_ldexp_f32 v5, v8, v5
	v_add_f32_e32 v8, -1.0, v6
	v_add_f32_e32 v11, 1.0, v6
	v_add_f32_e32 v9, 1.0, v8
	v_add_f32_e32 v12, -1.0, v11
	v_sub_f32_e32 v9, v6, v9
	v_sub_f32_e32 v6, v6, v12
	v_add_f32_e32 v9, v5, v9
	v_add_f32_e32 v5, v5, v6
	;; [unrolled: 1-line block ×3, first 2 shown]
	v_rcp_f32_e32 v12, v6
	v_add_f32_e32 v10, v8, v9
	v_sub_f32_e32 v8, v10, v8
	v_sub_f32_e32 v8, v9, v8
	;; [unrolled: 1-line block ×4, first 2 shown]
	v_mul_f32_e32 v9, v10, v12
	v_mul_f32_e32 v11, v6, v9
	v_fma_f32 v13, v9, v6, -v11
	v_fmac_f32_e32 v13, v9, v5
	v_add_f32_e32 v14, v11, v13
	v_sub_f32_e32 v15, v10, v14
	v_sub_f32_e32 v10, v10, v15
	;; [unrolled: 1-line block ×4, first 2 shown]
	v_add_f32_e32 v8, v8, v10
	v_sub_f32_e32 v10, v11, v13
	v_add_f32_e32 v8, v10, v8
	v_add_f32_e32 v10, v15, v8
	v_mul_f32_e32 v11, v12, v10
	v_mul_f32_e32 v13, v6, v11
	v_fma_f32 v6, v11, v6, -v13
	v_fmac_f32_e32 v6, v11, v5
	v_sub_f32_e32 v5, v15, v10
	v_add_f32_e32 v5, v8, v5
	v_add_f32_e32 v8, v13, v6
	v_sub_f32_e32 v14, v10, v8
	v_sub_f32_e32 v10, v10, v14
	;; [unrolled: 1-line block ×4, first 2 shown]
	v_add_f32_e32 v5, v5, v8
	v_sub_f32_e32 v6, v13, v6
	v_add_f32_e32 v5, v6, v5
	v_add_f32_e32 v6, v9, v11
	;; [unrolled: 1-line block ×3, first 2 shown]
	v_sub_f32_e32 v8, v6, v9
	v_mul_f32_e32 v5, v12, v5
	v_sub_f32_e32 v8, v11, v8
	v_add_f32_e32 v5, v8, v5
	v_cvt_f32_i32_e32 v4, v4
	v_add_f32_e32 v8, v6, v5
	v_mul_f32_e32 v9, v8, v8
	v_mov_b32_e32 v10, 0x3ecc95a3
	v_fmac_f32_e32 v10, 0x3e9b6dac, v9
	v_mov_b32_e32 v11, 0x3f2aaada
	v_fmac_f32_e32 v11, v9, v10
	v_mul_f32_e32 v10, 0x3f317218, v4
	v_fma_f32 v12, v4, s6, -v10
	v_fmac_f32_e32 v12, 0xb102e308, v4
	v_sub_f32_e32 v4, v8, v6
	v_sub_f32_e32 v4, v5, v4
	v_add_f32_e32 v5, v10, v12
	v_sub_f32_e32 v6, v5, v10
	v_ldexp_f32 v10, v8, 1
	v_mul_f32_e32 v8, v8, v9
	v_mul_f32_e32 v8, v8, v11
	v_add_f32_e32 v9, v10, v8
	v_sub_f32_e32 v10, v9, v10
	v_ldexp_f32 v4, v4, 1
	v_sub_f32_e32 v8, v8, v10
	v_add_f32_e32 v4, v4, v8
	v_add_f32_e32 v8, v9, v4
	v_sub_f32_e32 v9, v8, v9
	v_sub_f32_e32 v4, v4, v9
	v_add_f32_e32 v9, v5, v8
	v_sub_f32_e32 v10, v9, v5
	v_sub_f32_e32 v11, v9, v10
	;; [unrolled: 1-line block ×5, first 2 shown]
	v_add_f32_e32 v5, v8, v5
	v_add_f32_e32 v8, v6, v4
	v_sub_f32_e32 v10, v8, v6
	v_sub_f32_e32 v11, v8, v10
	;; [unrolled: 1-line block ×4, first 2 shown]
	v_add_f32_e32 v5, v8, v5
	v_add_f32_e32 v4, v4, v6
	;; [unrolled: 1-line block ×3, first 2 shown]
	v_sub_f32_e32 v8, v6, v9
	v_sub_f32_e32 v5, v5, v8
	v_add_f32_e32 v4, v4, v5
	s_mov_b32 s6, 0x7f800000
	v_add_f32_e32 v4, v6, v4
	v_mov_b32_e32 v5, 0x7f800000
	v_cmp_neq_f32_e32 vcc, s6, v7
	v_cndmask_b32_e32 v4, v5, v4, vcc
	v_mov_b32_e32 v5, 0x7fc00000
	v_cmp_ngt_f32_e32 vcc, -1.0, v7
	v_cndmask_b32_e32 v4, v5, v4, vcc
	v_mov_b32_e32 v5, 0xff800000
	v_cmp_neq_f32_e32 vcc, -1.0, v7
	s_mov_b32 s6, 0x33800000
	v_cndmask_b32_e32 v4, v5, v4, vcc
	v_cmp_lt_f32_e64 vcc, |v7|, s6
	v_cndmask_b32_e32 v4, v4, v7, vcc
	v_mul_f32_e32 v5, 0.5, v4
	v_max_f32_e64 v4, |v1|, |v1|
	v_max_f32_e64 v6, |v0|, |v0|
	v_min_f32_e32 v7, v6, v4
	v_max_f32_e32 v4, v6, v4
	v_frexp_mant_f32_e32 v6, v4
	v_rcp_f32_e32 v6, v6
	v_frexp_exp_i32_f32_e32 v4, v4
	v_frexp_exp_i32_f32_e32 v8, v7
	v_frexp_mant_f32_e32 v7, v7
	v_mul_f32_e32 v6, v7, v6
	v_sub_u32_e32 v4, v8, v4
	v_ldexp_f32 v4, v6, v4
	v_mul_f32_e32 v6, v4, v4
	v_mov_b32_e32 v7, 0xbc7a590c
	v_fmac_f32_e32 v7, 0x3b2d2a58, v6
	v_mov_b32_e32 v8, 0x3d29fb3f
	v_fmac_f32_e32 v8, v6, v7
	;; [unrolled: 2-line block ×7, first 2 shown]
	v_mul_f32_e32 v6, v6, v7
	v_fmac_f32_e32 v4, v4, v6
	v_sub_f32_e32 v6, 0x3fc90fdb, v4
	v_cndmask_b32_e64 v4, v4, v6, s[4:5]
	v_sub_f32_e32 v6, 0x40490fdb, v4
	v_cmp_gt_f32_e32 vcc, 0, v0
	v_cndmask_b32_e32 v4, v4, v6, vcc
	v_mov_b32_e32 v6, 0x40490fdb
	v_cmp_gt_i32_e64 s[6:7], 0, v0
	v_cndmask_b32_e64 v6, 0, v6, s[6:7]
	v_cmp_eq_f32_e64 s[6:7], 0, v1
	v_cndmask_b32_e64 v4, v4, v6, s[6:7]
	v_mov_b32_e32 v6, 0x3f490fdb
	v_mov_b32_e32 v7, 0x4016cbe4
	v_cmp_class_f32_e64 s[6:7], v0, s18
	v_cmp_class_f32_e64 s[18:19], v1, s18
	v_cndmask_b32_e32 v6, v6, v7, vcc
	s_and_b64 vcc, s[6:7], s[18:19]
	v_cndmask_b32_e32 v4, v4, v6, vcc
                                        ; implicit-def: $vgpr0
                                        ; implicit-def: $vgpr6
                                        ; implicit-def: $vgpr7
.LBB39_6:
	s_andn2_saveexec_b64 s[16:17], s[16:17]
	s_cbranch_execz .LBB39_14
; %bb.7:
	v_mul_f32_e32 v8, v6, v6
	v_fmac_f32_e32 v8, v7, v7
	s_mov_b32 s6, 0x3f333333
	v_cmp_ge_f32_e32 vcc, s6, v8
                                        ; implicit-def: $vgpr5
                                        ; implicit-def: $vgpr4
	s_and_saveexec_b64 s[6:7], vcc
	s_xor_b64 s[18:19], exec, s[6:7]
	s_cbranch_execz .LBB39_9
; %bb.8:
	s_mov_b32 s6, 0x800000
	v_cmp_gt_f32_e32 vcc, s6, v8
	v_cndmask_b32_e64 v4, 0, 32, vcc
	v_ldexp_f32 v4, v8, v4
	v_log_f32_e32 v4, v4
	s_mov_b32 s6, 0x3f317217
	s_mov_b32 s7, 0x7f800000
	v_max_f32_e64 v6, |v0|, |v0|
	v_mul_f32_e32 v5, 0x3f317217, v4
	v_fma_f32 v5, v4, s6, -v5
	v_fmac_f32_e32 v5, 0x3377d1cf, v4
	v_fmac_f32_e32 v5, 0x3f317217, v4
	v_cmp_lt_f32_e64 s[6:7], |v4|, s7
	v_cndmask_b32_e64 v4, v4, v5, s[6:7]
	v_mov_b32_e32 v5, 0x41b17218
	v_cndmask_b32_e32 v5, 0, v5, vcc
	v_sub_f32_e32 v4, v4, v5
	v_mul_f32_e32 v5, 0.5, v4
	v_max_f32_e64 v4, |v1|, |v1|
	v_min_f32_e32 v7, v6, v4
	v_max_f32_e32 v4, v6, v4
	v_frexp_mant_f32_e32 v6, v4
	v_rcp_f32_e32 v6, v6
	v_frexp_exp_i32_f32_e32 v4, v4
	v_frexp_exp_i32_f32_e32 v8, v7
	v_frexp_mant_f32_e32 v7, v7
	v_mul_f32_e32 v6, v7, v6
	v_sub_u32_e32 v4, v8, v4
	v_ldexp_f32 v4, v6, v4
	v_mul_f32_e32 v6, v4, v4
	v_mov_b32_e32 v7, 0xbc7a590c
	v_fmac_f32_e32 v7, 0x3b2d2a58, v6
	v_mov_b32_e32 v8, 0x3d29fb3f
	v_fmac_f32_e32 v8, v6, v7
	;; [unrolled: 2-line block ×7, first 2 shown]
	v_mul_f32_e32 v6, v6, v7
	v_fmac_f32_e32 v4, v4, v6
	v_sub_f32_e32 v6, 0x3fc90fdb, v4
	v_cndmask_b32_e64 v4, v4, v6, s[4:5]
	v_sub_f32_e32 v6, 0x40490fdb, v4
	v_cmp_gt_f32_e32 vcc, 0, v0
	v_cndmask_b32_e32 v4, v4, v6, vcc
	v_mov_b32_e32 v6, 0x40490fdb
	v_cmp_gt_i32_e64 s[6:7], 0, v0
	v_cndmask_b32_e64 v6, 0, v6, s[6:7]
	v_cmp_eq_f32_e64 s[6:7], 0, v1
	s_movk_i32 s20, 0x204
	v_cndmask_b32_e64 v4, v4, v6, s[6:7]
	v_mov_b32_e32 v6, 0x3f490fdb
	v_mov_b32_e32 v7, 0x4016cbe4
	v_cmp_class_f32_e64 s[6:7], v0, s20
	v_cmp_class_f32_e64 s[20:21], v1, s20
	v_cndmask_b32_e32 v6, v6, v7, vcc
	s_and_b64 vcc, s[6:7], s[20:21]
	v_cndmask_b32_e32 v4, v4, v6, vcc
                                        ; implicit-def: $vgpr0
                                        ; implicit-def: $vgpr7
                                        ; implicit-def: $vgpr6
.LBB39_9:
	s_andn2_saveexec_b64 s[18:19], s[18:19]
	s_cbranch_execz .LBB39_13
; %bb.10:
	v_and_b32_e32 v8, 0x7fff0000, v7
	v_sub_f32_e32 v4, v7, v8
	v_and_b32_e32 v12, 0xffff0000, v4
	v_and_b32_e32 v7, 0x7fff0000, v6
	v_sub_f32_e32 v14, v4, v12
	v_sub_f32_e32 v4, v6, v7
	v_and_b32_e32 v13, 0xffff0000, v4
	v_add_f32_e32 v9, v8, v8
	v_add_f32_e32 v16, v7, v7
	v_sub_f32_e32 v15, v4, v13
	v_mul_f32_e32 v4, v8, v8
	v_mul_f32_e32 v5, v7, v7
	;; [unrolled: 1-line block ×6, first 2 shown]
	v_add_f32_e32 v12, v12, v12
	v_add_f32_e32 v13, v13, v13
	v_mul_f32_e32 v10, v9, v14
	v_mul_f32_e32 v9, v16, v15
	;; [unrolled: 1-line block ×6, first 2 shown]
	s_mov_b64 s[20:21], 0
.LBB39_11:                              ; =>This Inner Loop Header: Depth=1
	v_cmp_nlt_f32_e32 vcc, v4, v5
	v_mov_b32_e32 v16, v15
	v_cndmask_b32_e32 v15, v4, v5, vcc
	v_cmp_nlt_f32_e64 s[6:7], v15, v8
	v_cndmask_b32_e64 v17, v15, v8, s[6:7]
	v_cndmask_b32_e32 v4, v5, v4, vcc
	s_and_b64 s[22:23], vcc, s[6:7]
	v_cmp_nlt_f32_e32 vcc, v17, v7
	v_cndmask_b32_e64 v5, v8, v15, s[6:7]
	v_cndmask_b32_e32 v15, v17, v7, vcc
	v_cmp_nlt_f32_e64 s[6:7], v15, v11
	v_cndmask_b32_e32 v8, v7, v17, vcc
	v_cndmask_b32_e64 v17, v15, v11, s[6:7]
	s_and_b64 s[24:25], vcc, s[6:7]
	v_cmp_nlt_f32_e32 vcc, v17, v6
	v_cndmask_b32_e64 v7, v11, v15, s[6:7]
	v_cndmask_b32_e32 v15, v17, v6, vcc
	v_cmp_nlt_f32_e64 s[6:7], v15, v10
	v_cndmask_b32_e32 v11, v6, v17, vcc
	v_cndmask_b32_e64 v17, v15, v10, s[6:7]
	v_cndmask_b32_e64 v6, v10, v15, s[6:7]
	s_and_b64 s[6:7], vcc, s[6:7]
	v_cmp_nlt_f32_e32 vcc, v17, v9
	v_cndmask_b32_e32 v15, v17, v9, vcc
	v_cndmask_b32_e32 v10, v9, v17, vcc
	s_and_b64 s[6:7], s[6:7], vcc
	v_cmp_nlt_f32_e32 vcc, v15, v12
	v_cndmask_b32_e32 v17, v15, v12, vcc
	v_cndmask_b32_e32 v9, v12, v15, vcc
	s_and_b64 s[6:7], s[6:7], vcc
	;; [unrolled: 4-line block ×4, first 2 shown]
	v_cmp_nlt_f32_e32 vcc, v17, v16
	s_and_b64 s[6:7], s[6:7], vcc
	s_and_b64 s[6:7], s[6:7], s[24:25]
	s_and_b64 s[6:7], s[6:7], s[22:23]
	s_and_b64 s[6:7], exec, s[6:7]
	v_cndmask_b32_e32 v15, v17, v16, vcc
	s_or_b64 s[20:21], s[6:7], s[20:21]
	v_cndmask_b32_e32 v14, v16, v17, vcc
	s_andn2_b64 exec, exec, s[20:21]
	s_cbranch_execnz .LBB39_11
; %bb.12:
	s_or_b64 exec, exec, s[20:21]
	v_add_f32_e32 v4, -1.0, v4
	v_add_f32_e32 v4, v4, v5
	v_add_f32_e32 v4, v4, v8
	;; [unrolled: 1-line block ×11, first 2 shown]
	v_add_f32_e32 v7, 1.0, v6
	v_cvt_f64_f32_e32 v[4:5], v7
	s_mov_b32 s6, 0x3f2aaaab
	v_add_f32_e32 v8, -1.0, v7
	v_sub_f32_e32 v9, v8, v7
	v_frexp_exp_i32_f64_e32 v4, v[4:5]
	v_frexp_mant_f32_e32 v5, v7
	v_cmp_gt_f32_e32 vcc, s6, v5
	v_sub_f32_e32 v8, v6, v8
	v_add_f32_e32 v9, 1.0, v9
	v_add_f32_e32 v8, v8, v9
	s_mov_b32 s6, 0x3f317218
	s_movk_i32 s20, 0x204
	v_subbrev_co_u32_e32 v4, vcc, 0, v4, vcc
	v_sub_u32_e32 v5, 0, v4
	v_ldexp_f32 v7, v7, v5
	v_ldexp_f32 v5, v8, v5
	v_add_f32_e32 v8, -1.0, v7
	v_add_f32_e32 v11, 1.0, v7
	v_add_f32_e32 v9, 1.0, v8
	v_add_f32_e32 v12, -1.0, v11
	v_sub_f32_e32 v9, v7, v9
	v_sub_f32_e32 v7, v7, v12
	v_add_f32_e32 v9, v5, v9
	v_add_f32_e32 v5, v5, v7
	;; [unrolled: 1-line block ×3, first 2 shown]
	v_rcp_f32_e32 v12, v7
	v_add_f32_e32 v10, v8, v9
	v_sub_f32_e32 v8, v10, v8
	v_sub_f32_e32 v8, v9, v8
	;; [unrolled: 1-line block ×4, first 2 shown]
	v_mul_f32_e32 v9, v10, v12
	v_mul_f32_e32 v11, v7, v9
	v_fma_f32 v13, v9, v7, -v11
	v_fmac_f32_e32 v13, v9, v5
	v_add_f32_e32 v14, v11, v13
	v_sub_f32_e32 v15, v10, v14
	v_sub_f32_e32 v10, v10, v15
	v_sub_f32_e32 v11, v14, v11
	v_sub_f32_e32 v10, v10, v14
	v_add_f32_e32 v8, v8, v10
	v_sub_f32_e32 v10, v11, v13
	v_add_f32_e32 v8, v10, v8
	v_add_f32_e32 v10, v15, v8
	v_mul_f32_e32 v11, v12, v10
	v_mul_f32_e32 v13, v7, v11
	v_fma_f32 v7, v11, v7, -v13
	v_fmac_f32_e32 v7, v11, v5
	v_sub_f32_e32 v5, v15, v10
	v_add_f32_e32 v5, v8, v5
	v_add_f32_e32 v8, v13, v7
	v_sub_f32_e32 v14, v10, v8
	v_sub_f32_e32 v10, v10, v14
	;; [unrolled: 1-line block ×4, first 2 shown]
	v_add_f32_e32 v5, v5, v8
	v_sub_f32_e32 v7, v13, v7
	v_add_f32_e32 v5, v7, v5
	v_add_f32_e32 v7, v9, v11
	;; [unrolled: 1-line block ×3, first 2 shown]
	v_sub_f32_e32 v8, v7, v9
	v_mul_f32_e32 v5, v12, v5
	v_sub_f32_e32 v8, v11, v8
	v_add_f32_e32 v5, v8, v5
	v_cvt_f32_i32_e32 v4, v4
	v_add_f32_e32 v8, v7, v5
	v_mul_f32_e32 v9, v8, v8
	v_mov_b32_e32 v10, 0x3ecc95a3
	v_fmac_f32_e32 v10, 0x3e9b6dac, v9
	v_mov_b32_e32 v11, 0x3f2aaada
	v_fmac_f32_e32 v11, v9, v10
	v_mul_f32_e32 v10, 0x3f317218, v4
	v_fma_f32 v12, v4, s6, -v10
	v_fmac_f32_e32 v12, 0xb102e308, v4
	v_sub_f32_e32 v4, v8, v7
	v_sub_f32_e32 v4, v5, v4
	v_add_f32_e32 v5, v10, v12
	v_sub_f32_e32 v7, v5, v10
	v_ldexp_f32 v10, v8, 1
	v_mul_f32_e32 v8, v8, v9
	v_mul_f32_e32 v8, v8, v11
	v_add_f32_e32 v9, v10, v8
	v_sub_f32_e32 v10, v9, v10
	v_ldexp_f32 v4, v4, 1
	v_sub_f32_e32 v8, v8, v10
	v_add_f32_e32 v4, v4, v8
	v_add_f32_e32 v8, v9, v4
	v_sub_f32_e32 v9, v8, v9
	v_sub_f32_e32 v4, v4, v9
	v_add_f32_e32 v9, v5, v8
	v_sub_f32_e32 v10, v9, v5
	v_sub_f32_e32 v11, v9, v10
	;; [unrolled: 1-line block ×5, first 2 shown]
	v_add_f32_e32 v5, v8, v5
	v_add_f32_e32 v8, v7, v4
	v_sub_f32_e32 v10, v8, v7
	v_sub_f32_e32 v11, v8, v10
	;; [unrolled: 1-line block ×4, first 2 shown]
	v_add_f32_e32 v5, v8, v5
	v_add_f32_e32 v4, v4, v7
	;; [unrolled: 1-line block ×3, first 2 shown]
	v_sub_f32_e32 v8, v7, v9
	v_sub_f32_e32 v5, v5, v8
	v_add_f32_e32 v4, v4, v5
	s_mov_b32 s6, 0x7f800000
	v_add_f32_e32 v4, v7, v4
	v_mov_b32_e32 v5, 0x7f800000
	v_cmp_neq_f32_e32 vcc, s6, v6
	v_cndmask_b32_e32 v4, v5, v4, vcc
	v_mov_b32_e32 v5, 0x7fc00000
	v_cmp_ngt_f32_e32 vcc, -1.0, v6
	v_cndmask_b32_e32 v4, v5, v4, vcc
	v_mov_b32_e32 v5, 0xff800000
	v_cmp_neq_f32_e32 vcc, -1.0, v6
	s_mov_b32 s6, 0x33800000
	v_cndmask_b32_e32 v4, v5, v4, vcc
	v_cmp_lt_f32_e64 vcc, |v6|, s6
	v_cndmask_b32_e32 v4, v4, v6, vcc
	v_mul_f32_e32 v5, 0.5, v4
	v_max_f32_e64 v4, |v1|, |v1|
	v_max_f32_e64 v6, |v0|, |v0|
	v_min_f32_e32 v7, v6, v4
	v_max_f32_e32 v4, v6, v4
	v_frexp_mant_f32_e32 v6, v4
	v_rcp_f32_e32 v6, v6
	v_frexp_exp_i32_f32_e32 v4, v4
	v_frexp_exp_i32_f32_e32 v8, v7
	v_frexp_mant_f32_e32 v7, v7
	v_mul_f32_e32 v6, v7, v6
	v_sub_u32_e32 v4, v8, v4
	v_ldexp_f32 v4, v6, v4
	v_mul_f32_e32 v6, v4, v4
	v_mov_b32_e32 v7, 0xbc7a590c
	v_fmac_f32_e32 v7, 0x3b2d2a58, v6
	v_mov_b32_e32 v8, 0x3d29fb3f
	v_fmac_f32_e32 v8, v6, v7
	;; [unrolled: 2-line block ×7, first 2 shown]
	v_mul_f32_e32 v6, v6, v7
	v_fmac_f32_e32 v4, v4, v6
	v_sub_f32_e32 v6, 0x3fc90fdb, v4
	v_cndmask_b32_e64 v4, v4, v6, s[4:5]
	v_sub_f32_e32 v6, 0x40490fdb, v4
	v_cmp_gt_f32_e32 vcc, 0, v0
	v_cndmask_b32_e32 v4, v4, v6, vcc
	v_mov_b32_e32 v6, 0x40490fdb
	v_cmp_gt_i32_e64 s[6:7], 0, v0
	v_cndmask_b32_e64 v6, 0, v6, s[6:7]
	v_cmp_eq_f32_e64 s[6:7], 0, v1
	v_cndmask_b32_e64 v4, v4, v6, s[6:7]
	v_mov_b32_e32 v6, 0x3f490fdb
	v_mov_b32_e32 v7, 0x4016cbe4
	v_cmp_class_f32_e64 s[6:7], v0, s20
	v_cmp_class_f32_e64 s[20:21], v1, s20
	v_cndmask_b32_e32 v6, v6, v7, vcc
	s_and_b64 vcc, s[6:7], s[20:21]
	v_cndmask_b32_e32 v4, v4, v6, vcc
.LBB39_13:
	s_or_b64 exec, exec, s[18:19]
.LBB39_14:
	s_or_b64 exec, exec, s[16:17]
                                        ; implicit-def: $vgpr0
.LBB39_15:
	s_andn2_saveexec_b64 s[14:15], s[14:15]
	s_cbranch_execz .LBB39_17
; %bb.16:
	v_max_f32_e64 v6, |v1|, |v1|
	v_max_f32_e64 v7, |v0|, |v0|
	v_max_f32_e32 v8, v7, v6
	v_cvt_f64_f32_e32 v[4:5], v8
	s_mov_b32 s6, 0x7f800000
	v_cmp_neq_f32_e32 vcc, s6, v8
	s_mov_b32 s7, 0x800000
	v_frexp_exp_i32_f64_e32 v4, v[4:5]
	v_mov_b32_e32 v5, 0x7f800000
	v_mov_b32_e32 v9, 0x41b17218
	s_mov_b32 s16, 0x3f317217
	v_min_f32_e32 v6, v7, v6
	v_frexp_exp_i32_f32_e32 v7, v8
	v_sub_u32_e32 v10, 0, v4
	v_ldexp_f32 v11, |v0|, v10
	v_ldexp_f32 v10, |v1|, v10
	v_mul_f32_e32 v10, v10, v10
	v_fmac_f32_e32 v10, v11, v11
	v_sqrt_f32_e32 v10, v10
	v_frexp_mant_f32_e32 v11, v8
	v_frexp_exp_i32_f32_e32 v8, v6
	v_ldexp_f32 v4, v10, v4
	v_cndmask_b32_e32 v4, v5, v4, vcc
	v_cmp_gt_f32_e32 vcc, s7, v4
	v_cndmask_b32_e64 v5, 0, 32, vcc
	v_ldexp_f32 v4, v4, v5
	v_log_f32_e32 v4, v4
	v_cndmask_b32_e32 v5, 0, v9, vcc
	v_rcp_f32_e32 v10, v11
	v_mul_f32_e32 v9, 0x3f317217, v4
	v_fma_f32 v9, v4, s16, -v9
	v_fmac_f32_e32 v9, 0x3377d1cf, v4
	v_fmac_f32_e32 v9, 0x3f317217, v4
	v_cmp_lt_f32_e64 vcc, |v4|, s6
	v_cndmask_b32_e32 v4, v4, v9, vcc
	v_sub_f32_e32 v5, v4, v5
	v_frexp_mant_f32_e32 v4, v6
	v_mul_f32_e32 v4, v4, v10
	v_sub_u32_e32 v6, v8, v7
	v_ldexp_f32 v4, v4, v6
	v_mul_f32_e32 v6, v4, v4
	v_mov_b32_e32 v7, 0xbc7a590c
	v_fmac_f32_e32 v7, 0x3b2d2a58, v6
	v_mov_b32_e32 v8, 0x3d29fb3f
	v_fmac_f32_e32 v8, v6, v7
	;; [unrolled: 2-line block ×7, first 2 shown]
	v_mul_f32_e32 v6, v6, v7
	v_fmac_f32_e32 v4, v4, v6
	v_sub_f32_e32 v6, 0x3fc90fdb, v4
	v_cndmask_b32_e64 v4, v4, v6, s[4:5]
	v_sub_f32_e32 v6, 0x40490fdb, v4
	v_cmp_gt_f32_e32 vcc, 0, v0
	v_cndmask_b32_e32 v4, v4, v6, vcc
	v_mov_b32_e32 v6, 0x40490fdb
	v_cmp_gt_i32_e64 s[6:7], 0, v0
	v_cndmask_b32_e64 v6, 0, v6, s[6:7]
	v_cmp_eq_f32_e64 s[6:7], 0, v1
	s_movk_i32 s16, 0x204
	v_cndmask_b32_e64 v4, v4, v6, s[6:7]
	v_mov_b32_e32 v6, 0x3f490fdb
	v_mov_b32_e32 v7, 0x4016cbe4
	v_cmp_class_f32_e64 s[6:7], v0, s16
	v_cmp_class_f32_e64 s[16:17], v1, s16
	v_cndmask_b32_e32 v6, v6, v7, vcc
	s_and_b64 vcc, s[6:7], s[16:17]
	v_cndmask_b32_e32 v4, v4, v6, vcc
.LBB39_17:
	s_or_b64 exec, exec, s[14:15]
                                        ; implicit-def: $vgpr6
                                        ; implicit-def: $vgpr0
.LBB39_18:
	s_andn2_saveexec_b64 s[12:13], s[12:13]
	s_cbranch_execz .LBB39_24
; %bb.19:
	s_mov_b32 s6, 0x1fec1e4a
	v_cmp_ngt_f32_e32 vcc, s6, v6
                                        ; implicit-def: $vgpr5
                                        ; implicit-def: $vgpr4
	s_and_saveexec_b64 s[6:7], vcc
	s_xor_b64 s[14:15], exec, s[6:7]
	s_cbranch_execz .LBB39_21
; %bb.20:
	v_mul_f32_e32 v6, v6, v6
	v_add_f32_e32 v7, 1.0, v6
	v_cvt_f64_f32_e32 v[4:5], v7
	s_mov_b32 s6, 0x3f2aaaab
	v_add_f32_e32 v8, -1.0, v7
	v_sub_f32_e32 v9, v8, v7
	v_frexp_exp_i32_f64_e32 v4, v[4:5]
	v_frexp_mant_f32_e32 v5, v7
	v_cmp_gt_f32_e32 vcc, s6, v5
	v_sub_f32_e32 v8, v6, v8
	v_add_f32_e32 v9, 1.0, v9
	v_add_f32_e32 v8, v8, v9
	s_mov_b32 s6, 0x3f317218
	s_movk_i32 s16, 0x204
	v_subbrev_co_u32_e32 v4, vcc, 0, v4, vcc
	v_sub_u32_e32 v5, 0, v4
	v_ldexp_f32 v7, v7, v5
	v_ldexp_f32 v5, v8, v5
	v_add_f32_e32 v8, -1.0, v7
	v_add_f32_e32 v11, 1.0, v7
	v_add_f32_e32 v9, 1.0, v8
	v_add_f32_e32 v12, -1.0, v11
	v_sub_f32_e32 v9, v7, v9
	v_sub_f32_e32 v7, v7, v12
	v_add_f32_e32 v9, v5, v9
	v_add_f32_e32 v5, v5, v7
	;; [unrolled: 1-line block ×3, first 2 shown]
	v_rcp_f32_e32 v12, v7
	v_add_f32_e32 v10, v8, v9
	v_sub_f32_e32 v8, v8, v10
	v_add_f32_e32 v8, v9, v8
	v_sub_f32_e32 v9, v11, v7
	v_add_f32_e32 v5, v5, v9
	v_mul_f32_e32 v9, v10, v12
	v_mul_f32_e32 v11, v7, v9
	v_fma_f32 v13, v9, v7, -v11
	v_fmac_f32_e32 v13, v9, v5
	v_add_f32_e32 v14, v11, v13
	v_sub_f32_e32 v15, v10, v14
	v_sub_f32_e32 v10, v10, v15
	v_sub_f32_e32 v11, v14, v11
	v_sub_f32_e32 v10, v10, v14
	v_add_f32_e32 v8, v8, v10
	v_sub_f32_e32 v10, v11, v13
	v_add_f32_e32 v8, v10, v8
	v_add_f32_e32 v10, v15, v8
	v_mul_f32_e32 v11, v12, v10
	v_mul_f32_e32 v13, v7, v11
	v_fma_f32 v7, v11, v7, -v13
	v_fmac_f32_e32 v7, v11, v5
	v_sub_f32_e32 v5, v15, v10
	v_add_f32_e32 v5, v8, v5
	v_add_f32_e32 v8, v13, v7
	v_sub_f32_e32 v14, v10, v8
	v_sub_f32_e32 v10, v10, v14
	;; [unrolled: 1-line block ×4, first 2 shown]
	v_add_f32_e32 v5, v5, v8
	v_sub_f32_e32 v7, v13, v7
	v_add_f32_e32 v5, v7, v5
	v_add_f32_e32 v7, v9, v11
	;; [unrolled: 1-line block ×3, first 2 shown]
	v_sub_f32_e32 v8, v7, v9
	v_mul_f32_e32 v5, v12, v5
	v_sub_f32_e32 v8, v11, v8
	v_add_f32_e32 v5, v8, v5
	v_cvt_f32_i32_e32 v4, v4
	v_add_f32_e32 v8, v7, v5
	v_mul_f32_e32 v9, v8, v8
	v_mov_b32_e32 v10, 0x3ecc95a3
	v_fmac_f32_e32 v10, 0x3e9b6dac, v9
	v_mov_b32_e32 v11, 0x3f2aaada
	v_fmac_f32_e32 v11, v9, v10
	v_mul_f32_e32 v10, 0x3f317218, v4
	v_fma_f32 v12, v4, s6, -v10
	v_fmac_f32_e32 v12, 0xb102e308, v4
	v_sub_f32_e32 v4, v8, v7
	v_sub_f32_e32 v4, v5, v4
	v_add_f32_e32 v5, v10, v12
	v_sub_f32_e32 v7, v5, v10
	v_ldexp_f32 v10, v8, 1
	v_mul_f32_e32 v8, v8, v9
	v_mul_f32_e32 v8, v8, v11
	v_add_f32_e32 v9, v10, v8
	v_sub_f32_e32 v10, v9, v10
	v_ldexp_f32 v4, v4, 1
	v_sub_f32_e32 v8, v8, v10
	v_add_f32_e32 v4, v4, v8
	v_add_f32_e32 v8, v9, v4
	v_sub_f32_e32 v9, v8, v9
	v_sub_f32_e32 v4, v4, v9
	v_add_f32_e32 v9, v5, v8
	v_sub_f32_e32 v10, v9, v5
	v_sub_f32_e32 v11, v9, v10
	;; [unrolled: 1-line block ×5, first 2 shown]
	v_add_f32_e32 v5, v8, v5
	v_add_f32_e32 v8, v7, v4
	v_sub_f32_e32 v10, v8, v7
	v_sub_f32_e32 v11, v8, v10
	;; [unrolled: 1-line block ×4, first 2 shown]
	v_add_f32_e32 v5, v8, v5
	v_add_f32_e32 v4, v4, v7
	;; [unrolled: 1-line block ×3, first 2 shown]
	v_sub_f32_e32 v8, v7, v9
	v_sub_f32_e32 v5, v5, v8
	v_add_f32_e32 v4, v4, v5
	s_mov_b32 s6, 0x7f800000
	v_add_f32_e32 v4, v7, v4
	v_mov_b32_e32 v5, 0x7f800000
	v_cmp_neq_f32_e32 vcc, s6, v6
	s_mov_b32 s6, 0x33800000
	v_cndmask_b32_e32 v4, v5, v4, vcc
	v_cmp_lt_f32_e64 vcc, |v6|, s6
	v_cndmask_b32_e32 v4, v4, v6, vcc
	v_mul_f32_e32 v5, 0.5, v4
	v_max_f32_e64 v4, |v1|, |v1|
	v_max_f32_e64 v6, |v0|, |v0|
	v_min_f32_e32 v7, v6, v4
	v_max_f32_e32 v4, v6, v4
	v_frexp_mant_f32_e32 v6, v4
	v_rcp_f32_e32 v6, v6
	v_frexp_exp_i32_f32_e32 v4, v4
	v_frexp_exp_i32_f32_e32 v8, v7
	v_frexp_mant_f32_e32 v7, v7
	v_mul_f32_e32 v6, v7, v6
	v_sub_u32_e32 v4, v8, v4
	v_ldexp_f32 v4, v6, v4
	v_mul_f32_e32 v6, v4, v4
	v_mov_b32_e32 v7, 0xbc7a590c
	v_fmac_f32_e32 v7, 0x3b2d2a58, v6
	v_mov_b32_e32 v8, 0x3d29fb3f
	v_fmac_f32_e32 v8, v6, v7
	;; [unrolled: 2-line block ×7, first 2 shown]
	v_mul_f32_e32 v6, v6, v7
	v_fmac_f32_e32 v4, v4, v6
	v_sub_f32_e32 v6, 0x3fc90fdb, v4
	v_cndmask_b32_e64 v4, v4, v6, s[4:5]
	v_sub_f32_e32 v6, 0x40490fdb, v4
	v_cmp_gt_f32_e32 vcc, 0, v0
	v_cndmask_b32_e32 v4, v4, v6, vcc
	v_mov_b32_e32 v6, 0x40490fdb
	v_cmp_gt_i32_e64 s[6:7], 0, v0
	v_cndmask_b32_e64 v6, 0, v6, s[6:7]
	v_cmp_eq_f32_e64 s[6:7], 0, v1
	v_cndmask_b32_e64 v4, v4, v6, s[6:7]
	v_mov_b32_e32 v6, 0x3f490fdb
	v_mov_b32_e32 v7, 0x4016cbe4
	v_cmp_class_f32_e64 s[6:7], v0, s16
	v_cmp_class_f32_e64 s[16:17], v1, s16
	v_cndmask_b32_e32 v6, v6, v7, vcc
	s_and_b64 vcc, s[6:7], s[16:17]
	v_cndmask_b32_e32 v4, v4, v6, vcc
                                        ; implicit-def: $vgpr6
                                        ; implicit-def: $vgpr0
.LBB39_21:
	s_andn2_saveexec_b64 s[14:15], s[14:15]
	s_cbranch_execz .LBB39_23
; %bb.22:
	v_mul_f32_e32 v4, 0.5, v6
	v_mul_f32_e32 v5, v6, v4
	v_max_f32_e64 v4, |v1|, |v1|
	v_max_f32_e64 v6, |v0|, |v0|
	v_min_f32_e32 v7, v6, v4
	v_max_f32_e32 v4, v6, v4
	v_frexp_mant_f32_e32 v6, v4
	v_rcp_f32_e32 v6, v6
	v_frexp_exp_i32_f32_e32 v4, v4
	v_frexp_exp_i32_f32_e32 v8, v7
	v_frexp_mant_f32_e32 v7, v7
	v_mul_f32_e32 v6, v7, v6
	v_sub_u32_e32 v4, v8, v4
	v_ldexp_f32 v4, v6, v4
	v_mul_f32_e32 v6, v4, v4
	v_mov_b32_e32 v7, 0xbc7a590c
	v_fmac_f32_e32 v7, 0x3b2d2a58, v6
	v_mov_b32_e32 v8, 0x3d29fb3f
	v_fmac_f32_e32 v8, v6, v7
	;; [unrolled: 2-line block ×7, first 2 shown]
	v_mul_f32_e32 v6, v6, v7
	v_fmac_f32_e32 v4, v4, v6
	v_sub_f32_e32 v6, 0x3fc90fdb, v4
	v_cndmask_b32_e64 v4, v4, v6, s[4:5]
	v_sub_f32_e32 v6, 0x40490fdb, v4
	v_cmp_gt_f32_e32 vcc, 0, v0
	v_cndmask_b32_e32 v4, v4, v6, vcc
	v_mov_b32_e32 v6, 0x40490fdb
	v_cmp_gt_i32_e64 s[6:7], 0, v0
	v_cndmask_b32_e64 v6, 0, v6, s[6:7]
	v_cmp_eq_f32_e64 s[6:7], 0, v1
	s_movk_i32 s16, 0x204
	v_cndmask_b32_e64 v4, v4, v6, s[6:7]
	v_mov_b32_e32 v6, 0x3f490fdb
	v_mov_b32_e32 v7, 0x4016cbe4
	v_cmp_class_f32_e64 s[6:7], v0, s16
	v_cmp_class_f32_e64 s[16:17], v1, s16
	v_cndmask_b32_e32 v6, v6, v7, vcc
	s_and_b64 vcc, s[6:7], s[16:17]
	v_cndmask_b32_e32 v4, v4, v6, vcc
.LBB39_23:
	s_or_b64 exec, exec, s[14:15]
.LBB39_24:
	s_or_b64 exec, exec, s[12:13]
                                        ; implicit-def: $vgpr0
.LBB39_25:
	s_andn2_saveexec_b64 s[10:11], s[10:11]
	s_cbranch_execz .LBB39_27
; %bb.26:
	s_mov_b32 s12, 0x402df854
	v_div_scale_f32 v4, s[6:7], s12, s12, v0
	v_div_scale_f32 v5, s[6:7], s12, s12, v1
	v_div_scale_f32 v6, vcc, v0, s12, v0
	v_div_scale_f32 v7, s[6:7], v1, s12, v1
	s_mov_b32 s13, 0x3f317217
	v_mov_b32_e32 v14, 0xbe1160e6
	v_rcp_f32_e32 v8, v4
	v_rcp_f32_e32 v9, v5
	v_fma_f32 v10, -v4, v8, 1.0
	v_fmac_f32_e32 v8, v10, v8
	v_fma_f32 v11, -v5, v9, 1.0
	v_fmac_f32_e32 v9, v11, v9
	v_mul_f32_e32 v10, v6, v8
	v_mul_f32_e32 v11, v7, v9
	v_fma_f32 v12, -v4, v10, v6
	v_fma_f32 v13, -v5, v11, v7
	v_fmac_f32_e32 v10, v12, v8
	v_fmac_f32_e32 v11, v13, v9
	v_fma_f32 v4, -v4, v10, v6
	v_fma_f32 v5, -v5, v11, v7
	v_div_fmas_f32 v4, v4, v8, v10
	s_mov_b64 vcc, s[6:7]
	v_div_fmas_f32 v5, v5, v9, v11
	v_max_f32_e64 v8, |v1|, |v1|
	v_max_f32_e64 v9, |v0|, |v0|
	v_min_f32_e32 v18, v9, v8
	v_max_f32_e32 v8, v9, v8
	v_frexp_exp_i32_f32_e32 v9, v8
	s_mov_b32 s6, 0x7f800000
	v_mov_b32_e32 v6, 0x7f800000
	s_mov_b32 s7, 0x800000
	v_mov_b32_e32 v10, 0xbc7a590c
	v_mov_b32_e32 v7, 0x41b17218
	;; [unrolled: 1-line block ×5, first 2 shown]
	v_div_fixup_f32 v15, v4, s12, v0
	v_div_fixup_f32 v16, v5, s12, v1
	v_max_f32_e64 v17, |v15|, |v16|
	v_cvt_f64_f32_e32 v[4:5], v17
	v_cmp_neq_f32_e32 vcc, s6, v17
	v_frexp_exp_i32_f64_e32 v4, v[4:5]
	v_frexp_mant_f32_e32 v5, v8
	v_rcp_f32_e32 v5, v5
	v_frexp_exp_i32_f32_e32 v8, v18
	v_frexp_mant_f32_e32 v18, v18
	v_sub_u32_e32 v8, v8, v9
	v_mul_f32_e32 v5, v18, v5
	v_ldexp_f32 v8, v5, v8
	v_sub_u32_e32 v5, 0, v4
	v_ldexp_f32 v9, |v15|, v5
	v_ldexp_f32 v5, |v16|, v5
	v_mul_f32_e32 v5, v5, v5
	v_fmac_f32_e32 v5, v9, v9
	v_sqrt_f32_e32 v5, v5
	v_mul_f32_e32 v9, v8, v8
	v_fmac_f32_e32 v10, 0x3b2d2a58, v9
	v_fmac_f32_e32 v11, v9, v10
	v_ldexp_f32 v4, v5, v4
	v_cndmask_b32_e32 v4, v6, v4, vcc
	v_cmp_gt_f32_e32 vcc, s7, v4
	v_cndmask_b32_e64 v5, 0, 32, vcc
	v_ldexp_f32 v4, v4, v5
	v_log_f32_e32 v4, v4
	v_cndmask_b32_e32 v5, 0, v7, vcc
	v_fmac_f32_e32 v12, v9, v11
	v_fmac_f32_e32 v13, v9, v12
	v_mul_f32_e32 v6, 0x3f317217, v4
	v_fma_f32 v6, v4, s13, -v6
	v_fmac_f32_e32 v6, 0x3377d1cf, v4
	v_fmac_f32_e32 v6, 0x3f317217, v4
	v_cmp_lt_f32_e64 vcc, |v4|, s6
	v_cndmask_b32_e32 v4, v4, v6, vcc
	v_sub_f32_e32 v4, v4, v5
	v_add_f32_e32 v5, 1.0, v4
	v_fmac_f32_e32 v14, v9, v13
	v_mov_b32_e32 v4, 0x3e4cb8bf
	v_fmac_f32_e32 v4, v9, v14
	v_mov_b32_e32 v6, 0xbeaaaa62
	v_fmac_f32_e32 v6, v9, v4
	v_mul_f32_e32 v4, v9, v6
	v_fmac_f32_e32 v8, v8, v4
	v_sub_f32_e32 v4, 0x3fc90fdb, v8
	v_cndmask_b32_e64 v4, v8, v4, s[4:5]
	v_sub_f32_e32 v6, 0x40490fdb, v4
	v_cmp_gt_f32_e32 vcc, 0, v0
	v_cndmask_b32_e32 v4, v4, v6, vcc
	v_mov_b32_e32 v6, 0x40490fdb
	v_cmp_gt_i32_e64 s[4:5], 0, v0
	v_cndmask_b32_e64 v6, 0, v6, s[4:5]
	v_cmp_eq_f32_e64 s[4:5], 0, v1
	s_movk_i32 s6, 0x204
	v_cndmask_b32_e64 v4, v4, v6, s[4:5]
	v_mov_b32_e32 v6, 0x3f490fdb
	v_mov_b32_e32 v7, 0x4016cbe4
	v_cmp_class_f32_e64 s[4:5], v0, s6
	v_cmp_class_f32_e64 s[6:7], v1, s6
	v_cndmask_b32_e32 v6, v6, v7, vcc
	s_and_b64 vcc, s[4:5], s[6:7]
	v_cndmask_b32_e32 v4, v4, v6, vcc
.LBB39_27:
	s_or_b64 exec, exec, s[10:11]
                                        ; implicit-def: $vgpr0
.LBB39_28:
	s_andn2_saveexec_b64 s[6:7], s[8:9]
	s_cbranch_execz .LBB39_34
; %bb.29:
	s_brev_b32 s8, 4
	v_cmp_nlt_f32_e64 s[4:5], |v0|, s8
	v_cmp_nlt_f32_e64 s[8:9], |v1|, s8
	s_or_b64 s[4:5], s[4:5], s[8:9]
                                        ; implicit-def: $vgpr4
	s_and_saveexec_b64 s[8:9], s[4:5]
	s_xor_b64 s[4:5], exec, s[8:9]
; %bb.30:
	v_mul_f32_e32 v4, v1, v1
	v_fmac_f32_e32 v4, v0, v0
                                        ; implicit-def: $vgpr0
; %bb.31:
	s_andn2_saveexec_b64 s[4:5], s[4:5]
; %bb.32:
	v_mul_f32_e32 v4, 4.0, v1
	v_mul_f32_e32 v0, 4.0, v0
	v_mul_f32_e32 v4, v4, v4
	v_fmac_f32_e32 v4, v0, v0
	v_mul_f32_e32 v4, 0x3d800000, v4
; %bb.33:
	s_or_b64 exec, exec, s[4:5]
	s_mov_b32 s4, 0x800000
	v_cmp_gt_f32_e32 vcc, s4, v4
	v_cndmask_b32_e64 v0, 0, 32, vcc
	v_ldexp_f32 v0, v4, v0
	v_log_f32_e32 v0, v0
	s_mov_b32 s4, 0x3f317217
	s_mov_b32 s5, 0x7f800000
	v_mul_f32_e32 v4, 0x3f317217, v0
	v_fma_f32 v4, v0, s4, -v4
	v_fmac_f32_e32 v4, 0x3377d1cf, v0
	v_fmac_f32_e32 v4, 0x3f317217, v0
	v_cmp_lt_f32_e64 s[4:5], |v0|, s5
	v_cndmask_b32_e64 v0, v0, v4, s[4:5]
	v_mov_b32_e32 v4, 0x41b17218
	v_cndmask_b32_e32 v4, 0, v4, vcc
	v_sub_f32_e32 v5, v0, v4
	v_mov_b32_e32 v4, 0x7fc00000
.LBB39_34:
	s_or_b64 exec, exec, s[6:7]
	s_brev_b32 s4, -2
	v_bfi_b32 v0, s4, v4, v1
	v_mul_f32_e32 v1, v3, v5
	v_mul_f32_e64 v4, v3, -v0
	v_fmac_f32_e32 v1, v2, v0
	v_fmac_f32_e32 v4, v2, v5
	v_and_b32_e32 v2, 0x7fffffff, v1
	v_cmp_ne_u32_e32 vcc, 0, v2
                                        ; implicit-def: $vgpr0
	s_and_saveexec_b64 s[4:5], vcc
	s_xor_b64 s[10:11], exec, s[4:5]
	s_cbranch_execz .LBB39_40
; %bb.35:
	v_and_b32_e32 v3, 0x7fffffff, v4
	v_cmp_ne_u32_e32 vcc, 0, v3
                                        ; implicit-def: $vgpr0
	s_and_saveexec_b64 s[4:5], vcc
	s_xor_b64 s[12:13], exec, s[4:5]
	s_cbranch_execz .LBB39_67
; %bb.36:
	s_mov_b32 s4, 0x7f800000
	v_cmp_gt_u32_e32 vcc, s4, v2
                                        ; implicit-def: $vgpr0
	s_and_saveexec_b64 s[4:5], vcc
	s_xor_b64 s[14:15], exec, s[4:5]
	s_cbranch_execz .LBB39_60
; %bb.37:
	v_add_u32_e32 v0, 0xbd4e8de8, v4
	s_mov_b32 s4, 0x8e8e5c
	v_cmp_lt_u32_e32 vcc, s4, v0
                                        ; implicit-def: $vgpr0
	s_and_saveexec_b64 s[4:5], vcc
	s_xor_b64 s[16:17], exec, s[4:5]
	s_cbranch_execz .LBB39_49
; %bb.38:
	s_brev_b32 s4, 18
	v_cmp_nlt_f32_e64 s[18:19], |v1|, s4
                                        ; implicit-def: $vgpr0
                                        ; implicit-def: $vgpr3
	s_and_saveexec_b64 s[4:5], s[18:19]
	s_xor_b64 s[20:21], exec, s[4:5]
	s_cbranch_execz .LBB39_42
; %bb.39:
	v_and_b32_e32 v0, 0x7fffff, v2
	v_or_b32_e32 v0, 0x800000, v0
	s_mov_b32 s4, 0xfe5163ab
	v_mad_u64_u32 v[5:6], s[4:5], v0, s4, 0
	v_mov_b32_e32 v7, 0
	s_mov_b32 s4, 0x3c439041
	v_mad_u64_u32 v[8:9], s[4:5], v0, s4, v[6:7]
	s_mov_b32 s4, 0xdb629599
	v_lshrrev_b32_e32 v3, 23, v2
	v_mov_b32_e32 v6, v9
	v_mad_u64_u32 v[9:10], s[4:5], v0, s4, v[6:7]
	s_mov_b32 s4, 0xf534ddc0
	v_add_u32_e32 v3, 0xffffff88, v3
	v_mov_b32_e32 v6, v10
	v_mad_u64_u32 v[10:11], s[4:5], v0, s4, v[6:7]
	s_mov_b32 s4, 0xfc2757d1
	v_not_b32_e32 v13, 63
	v_mov_b32_e32 v6, v11
	v_mad_u64_u32 v[11:12], s[4:5], v0, s4, v[6:7]
	v_cmp_lt_u32_e32 vcc, 63, v3
	v_cndmask_b32_e32 v6, 0, v13, vcc
	v_add_u32_e32 v3, v6, v3
	v_mov_b32_e32 v6, v12
	s_mov_b32 s4, 0x4e441529
	v_mad_u64_u32 v[12:13], s[4:5], v0, s4, v[6:7]
	v_not_b32_e32 v14, 31
	v_cmp_lt_u32_e64 s[4:5], 31, v3
	v_cndmask_b32_e64 v6, 0, v14, s[4:5]
	v_add_u32_e32 v3, v6, v3
	v_mov_b32_e32 v6, v13
	s_mov_b32 s6, 0xa2f9836e
	v_mad_u64_u32 v[6:7], s[6:7], v0, s6, v[6:7]
	v_cmp_lt_u32_e64 s[6:7], 31, v3
	v_cndmask_b32_e64 v0, 0, v14, s[6:7]
	v_add_u32_e32 v0, v0, v3
	v_cndmask_b32_e32 v3, v12, v10, vcc
	v_cndmask_b32_e32 v6, v6, v11, vcc
	;; [unrolled: 1-line block ×3, first 2 shown]
	v_cndmask_b32_e64 v13, v6, v3, s[4:5]
	v_cndmask_b32_e64 v6, v7, v6, s[4:5]
	v_cndmask_b32_e32 v7, v11, v9, vcc
	v_cndmask_b32_e64 v3, v3, v7, s[4:5]
	v_cndmask_b32_e64 v6, v6, v13, s[6:7]
	v_cndmask_b32_e64 v11, v13, v3, s[6:7]
	v_sub_u32_e32 v12, 32, v0
	v_alignbit_b32 v13, v6, v11, v12
	v_cmp_eq_u32_e64 s[8:9], 0, v0
	v_cndmask_b32_e64 v0, v13, v6, s[8:9]
	v_cndmask_b32_e32 v6, v10, v8, vcc
	v_cndmask_b32_e64 v7, v7, v6, s[4:5]
	v_cndmask_b32_e64 v3, v3, v7, s[6:7]
	v_alignbit_b32 v8, v11, v3, v12
	v_cndmask_b32_e32 v5, v9, v5, vcc
	v_cndmask_b32_e64 v8, v8, v11, s[8:9]
	v_bfe_u32 v13, v0, 29, 1
	v_cndmask_b32_e64 v5, v6, v5, s[4:5]
	v_alignbit_b32 v10, v0, v8, 30
	v_sub_u32_e32 v14, 0, v13
	v_cndmask_b32_e64 v5, v7, v5, s[6:7]
	v_xor_b32_e32 v10, v10, v14
	v_alignbit_b32 v6, v3, v5, v12
	v_cndmask_b32_e64 v3, v6, v3, s[8:9]
	v_ffbh_u32_e32 v7, v10
	v_alignbit_b32 v6, v8, v3, 30
	v_min_u32_e32 v7, 32, v7
	v_alignbit_b32 v3, v3, v5, 30
	v_xor_b32_e32 v6, v6, v14
	v_sub_u32_e32 v8, 31, v7
	v_xor_b32_e32 v3, v3, v14
	v_alignbit_b32 v9, v10, v6, v8
	v_alignbit_b32 v3, v6, v3, v8
	;; [unrolled: 1-line block ×3, first 2 shown]
	v_ffbh_u32_e32 v6, v5
	v_min_u32_e32 v6, 32, v6
	v_lshrrev_b32_e32 v11, 29, v0
	v_not_b32_e32 v8, v6
	v_alignbit_b32 v3, v5, v3, v8
	v_lshlrev_b32_e32 v5, 31, v11
	v_or_b32_e32 v8, 0x33000000, v5
	v_add_lshl_u32 v6, v6, v7, 23
	v_lshrrev_b32_e32 v3, 9, v3
	v_sub_u32_e32 v6, v8, v6
	v_or_b32_e32 v5, 0.5, v5
	v_lshlrev_b32_e32 v7, 23, v7
	v_or_b32_e32 v3, v6, v3
	v_lshrrev_b32_e32 v6, 9, v9
	v_sub_u32_e32 v5, v5, v7
	v_or_b32_e32 v5, v6, v5
	s_mov_b32 s4, 0x3fc90fda
	v_mul_f32_e32 v6, 0x3fc90fda, v5
	v_fma_f32 v7, v5, s4, -v6
	v_fmac_f32_e32 v7, 0x33a22168, v5
	v_fmac_f32_e32 v7, 0x3fc90fda, v3
	v_lshrrev_b32_e32 v0, 30, v0
	v_add_f32_e32 v3, v6, v7
	v_add_u32_e32 v0, v13, v0
	s_andn2_saveexec_b64 s[4:5], s[20:21]
	s_cbranch_execz .LBB39_44
	s_branch .LBB39_43
.LBB39_40:
	s_andn2_saveexec_b64 s[4:5], s[10:11]
	s_cbranch_execz .LBB39_78
.LBB39_41:
	v_mul_f32_e32 v0, 0x3fb8aa3b, v4
	s_mov_b32 s6, 0x3fb8aa3b
	v_rndne_f32_e32 v2, v0
	v_sub_f32_e32 v3, v0, v2
	v_fma_f32 v0, v4, s6, -v0
	v_fmac_f32_e32 v0, 0x32a5705f, v4
	v_add_f32_e32 v0, v3, v0
	v_exp_f32_e32 v0, v0
	v_cvt_i32_f32_e32 v2, v2
	s_mov_b32 s6, 0xc2ce8ed0
	v_cmp_ngt_f32_e32 vcc, s6, v4
	s_mov_b32 s6, 0x42b17218
	v_ldexp_f32 v0, v0, v2
	v_cndmask_b32_e32 v0, 0, v0, vcc
	v_mov_b32_e32 v2, 0x7f800000
	v_cmp_nlt_f32_e32 vcc, s6, v4
	v_cndmask_b32_e32 v0, v2, v0, vcc
	s_or_b64 exec, exec, s[4:5]
	s_setpc_b64 s[30:31]
.LBB39_42:
	s_andn2_saveexec_b64 s[4:5], s[20:21]
	s_cbranch_execz .LBB39_44
.LBB39_43:
	s_mov_b32 s6, 0x3f22f983
	v_mul_f32_e64 v0, |v1|, s6
	v_rndne_f32_e32 v5, v0
	s_mov_b32 s6, 0xbfc90fda
	v_cvt_i32_f32_e32 v0, v5
	v_fma_f32 v3, v5, s6, |v1|
	v_fmac_f32_e32 v3, 0xb3a22168, v5
	v_fmac_f32_e32 v3, 0xa7c234c4, v5
.LBB39_44:
	s_or_b64 exec, exec, s[4:5]
                                        ; implicit-def: $vgpr5
                                        ; implicit-def: $vgpr6
	s_and_saveexec_b64 s[4:5], s[18:19]
	s_xor_b64 s[18:19], exec, s[4:5]
	s_cbranch_execz .LBB39_46
; %bb.45:
	v_and_b32_e32 v5, 0x7fffff, v2
	v_or_b32_e32 v14, 0x800000, v5
	s_mov_b32 s4, 0xfe5163ab
	v_mad_u64_u32 v[5:6], s[4:5], v14, s4, 0
	v_mov_b32_e32 v7, 0
	s_mov_b32 s4, 0x3c439041
	v_mad_u64_u32 v[8:9], s[4:5], v14, s4, v[6:7]
	s_mov_b32 s4, 0xdb629599
	v_not_b32_e32 v13, 63
	v_mov_b32_e32 v6, v9
	v_mad_u64_u32 v[9:10], s[4:5], v14, s4, v[6:7]
	s_mov_b32 s4, 0xf534ddc0
	v_not_b32_e32 v16, 31
	v_mov_b32_e32 v6, v10
	v_mad_u64_u32 v[10:11], s[4:5], v14, s4, v[6:7]
	v_lshrrev_b32_e32 v6, 23, v2
	v_add_u32_e32 v15, 0xffffff88, v6
	v_mov_b32_e32 v6, v11
	s_mov_b32 s4, 0xfc2757d1
	v_mad_u64_u32 v[11:12], s[4:5], v14, s4, v[6:7]
	v_cmp_lt_u32_e32 vcc, 63, v15
	v_cndmask_b32_e32 v6, 0, v13, vcc
	v_add_u32_e32 v15, v6, v15
	v_mov_b32_e32 v6, v12
	s_mov_b32 s4, 0x4e441529
	v_mad_u64_u32 v[12:13], s[4:5], v14, s4, v[6:7]
	v_cmp_lt_u32_e64 s[4:5], 31, v15
	v_cndmask_b32_e64 v6, 0, v16, s[4:5]
	v_add_u32_e32 v15, v6, v15
	v_mov_b32_e32 v6, v13
	s_mov_b32 s6, 0xa2f9836e
	v_mad_u64_u32 v[6:7], s[6:7], v14, s6, v[6:7]
	v_cmp_lt_u32_e64 s[6:7], 31, v15
	v_cndmask_b32_e64 v13, 0, v16, s[6:7]
	v_cndmask_b32_e32 v14, v12, v10, vcc
	v_cndmask_b32_e32 v6, v6, v11, vcc
	;; [unrolled: 1-line block ×3, first 2 shown]
	v_add_u32_e32 v13, v13, v15
	v_cndmask_b32_e64 v15, v6, v14, s[4:5]
	v_cndmask_b32_e64 v6, v7, v6, s[4:5]
	v_cndmask_b32_e32 v7, v11, v9, vcc
	v_cndmask_b32_e64 v11, v14, v7, s[4:5]
	v_cndmask_b32_e64 v6, v6, v15, s[6:7]
	;; [unrolled: 1-line block ×3, first 2 shown]
	v_sub_u32_e32 v14, 32, v13
	v_alignbit_b32 v15, v6, v12, v14
	v_cmp_eq_u32_e64 s[8:9], 0, v13
	v_cndmask_b32_e64 v13, v15, v6, s[8:9]
	v_cndmask_b32_e32 v6, v10, v8, vcc
	v_cndmask_b32_e64 v7, v7, v6, s[4:5]
	v_cndmask_b32_e64 v8, v11, v7, s[6:7]
	v_alignbit_b32 v10, v12, v8, v14
	v_cndmask_b32_e32 v5, v9, v5, vcc
	v_cndmask_b32_e64 v10, v10, v12, s[8:9]
	v_bfe_u32 v15, v13, 29, 1
	v_cndmask_b32_e64 v5, v6, v5, s[4:5]
	v_alignbit_b32 v11, v13, v10, 30
	v_sub_u32_e32 v16, 0, v15
	v_cndmask_b32_e64 v5, v7, v5, s[6:7]
	v_xor_b32_e32 v11, v11, v16
	v_alignbit_b32 v6, v8, v5, v14
	v_cndmask_b32_e64 v6, v6, v8, s[8:9]
	v_ffbh_u32_e32 v8, v11
	v_alignbit_b32 v7, v10, v6, 30
	v_min_u32_e32 v8, 32, v8
	v_alignbit_b32 v5, v6, v5, 30
	v_xor_b32_e32 v7, v7, v16
	v_sub_u32_e32 v9, 31, v8
	v_xor_b32_e32 v5, v5, v16
	v_alignbit_b32 v10, v11, v7, v9
	v_alignbit_b32 v5, v7, v5, v9
	v_alignbit_b32 v6, v10, v5, 9
	v_ffbh_u32_e32 v7, v6
	v_min_u32_e32 v7, 32, v7
	v_lshrrev_b32_e32 v12, 29, v13
	v_not_b32_e32 v9, v7
	v_alignbit_b32 v5, v6, v5, v9
	v_lshlrev_b32_e32 v6, 31, v12
	v_or_b32_e32 v9, 0x33000000, v6
	v_add_lshl_u32 v7, v7, v8, 23
	v_lshrrev_b32_e32 v5, 9, v5
	v_sub_u32_e32 v7, v9, v7
	v_or_b32_e32 v6, 0.5, v6
	v_lshlrev_b32_e32 v8, 23, v8
	v_or_b32_e32 v5, v7, v5
	v_lshrrev_b32_e32 v7, 9, v10
	v_sub_u32_e32 v6, v6, v8
	v_or_b32_e32 v6, v7, v6
	s_mov_b32 s4, 0x3fc90fda
	v_mul_f32_e32 v7, 0x3fc90fda, v6
	v_fma_f32 v8, v6, s4, -v7
	v_fmac_f32_e32 v8, 0x33a22168, v6
	v_fmac_f32_e32 v8, 0x3fc90fda, v5
	v_lshrrev_b32_e32 v5, 30, v13
	v_add_f32_e32 v6, v7, v8
	v_add_u32_e32 v5, v15, v5
	s_andn2_saveexec_b64 s[4:5], s[18:19]
	s_cbranch_execnz .LBB39_47
	s_branch .LBB39_48
.LBB39_46:
	s_andn2_saveexec_b64 s[4:5], s[18:19]
	s_cbranch_execz .LBB39_48
.LBB39_47:
	s_mov_b32 s6, 0x3f22f983
	v_mul_f32_e64 v5, |v1|, s6
	v_rndne_f32_e32 v7, v5
	s_mov_b32 s6, 0xbfc90fda
	v_cvt_i32_f32_e32 v5, v7
	v_fma_f32 v6, v7, s6, |v1|
	v_fmac_f32_e32 v6, 0xb3a22168, v7
	v_fmac_f32_e32 v6, 0xa7c234c4, v7
.LBB39_48:
	s_or_b64 exec, exec, s[4:5]
	v_mul_f32_e32 v7, 0x3fb8aa3b, v4
	s_mov_b32 s4, 0x3fb8aa3b
	v_rndne_f32_e32 v8, v7
	v_sub_f32_e32 v9, v7, v8
	v_fma_f32 v7, v4, s4, -v7
	v_fmac_f32_e32 v7, 0x32a5705f, v4
	v_add_f32_e32 v7, v9, v7
	v_exp_f32_e32 v7, v7
	v_cvt_i32_f32_e32 v8, v8
	s_mov_b32 s4, 0xc2ce8ed0
	v_cmp_ngt_f32_e32 vcc, s4, v4
	s_mov_b32 s4, 0x42b17218
	v_ldexp_f32 v7, v7, v8
	v_cndmask_b32_e32 v7, 0, v7, vcc
	v_mov_b32_e32 v8, 0x7f800000
	v_cmp_nlt_f32_e32 vcc, s4, v4
	v_cndmask_b32_e32 v4, v8, v7, vcc
	v_mul_f32_e32 v7, v3, v3
	v_mov_b32_e32 v11, 0xbab64f3b
	v_mov_b32_e32 v9, 0x3c0881c4
	v_fmac_f32_e32 v11, 0x37d75334, v7
	v_mov_b32_e32 v12, 0x3d2aabf7
	v_fmac_f32_e32 v9, 0xb94c1982, v7
	v_mov_b32_e32 v10, 0xbe2aaa9d
	v_fma_f32 v11, v7, v11, v12
	v_mov_b32_e32 v13, 0xbf000004
	v_fma_f32 v9, v7, v9, v10
	v_fma_f32 v11, v7, v11, v13
	v_mul_f32_e32 v9, v7, v9
	v_fma_f32 v7, v7, v11, 1.0
	v_and_b32_e32 v11, 1, v0
	v_fmac_f32_e32 v3, v3, v9
	v_cmp_eq_u32_e32 vcc, 0, v11
	v_mov_b32_e32 v8, 0x3c0881c4
	v_cndmask_b32_e64 v3, -v3, v7, vcc
	v_mul_f32_e32 v7, v6, v6
	v_mov_b32_e32 v9, 0xbab64f3b
	v_fmac_f32_e32 v8, 0xb94c1982, v7
	v_fmac_f32_e32 v10, v7, v8
	;; [unrolled: 1-line block ×3, first 2 shown]
	v_mul_f32_e32 v8, v7, v10
	v_fmac_f32_e32 v12, v7, v9
	s_movk_i32 s4, 0x1f8
	v_fmac_f32_e32 v6, v6, v8
	v_fmac_f32_e32 v13, v7, v12
	v_and_b32_e32 v8, 1, v5
	s_brev_b32 s6, 1
	v_cmp_class_f32_e64 vcc, v1, s4
	v_fma_f32 v7, v7, v13, 1.0
	v_cmp_eq_u32_e64 s[4:5], 0, v8
	v_lshlrev_b32_e32 v5, 30, v5
	v_lshlrev_b32_e32 v0, 30, v0
	v_cndmask_b32_e64 v6, v7, v6, s[4:5]
	v_and_or_b32 v2, v5, s6, v2
	v_and_b32_e32 v0, 0x80000000, v0
	v_xor_b32_e32 v2, v2, v6
	v_xor_b32_e32 v0, v0, v3
	v_mov_b32_e32 v3, 0x7fc00000
	v_xor_b32_e32 v1, v2, v1
	v_cndmask_b32_e32 v0, v3, v0, vcc
	v_cndmask_b32_e32 v1, v3, v1, vcc
	v_mul_f32_e32 v0, v4, v0
	v_mul_f32_e32 v1, v4, v1
                                        ; implicit-def: $vgpr4
                                        ; implicit-def: $vgpr2
.LBB39_49:
	s_andn2_saveexec_b64 s[16:17], s[16:17]
	s_cbranch_execz .LBB39_52
; %bb.50:
	s_brev_b32 s4, 18
	v_cmp_nlt_f32_e64 s[18:19], |v1|, s4
                                        ; implicit-def: $vgpr3
                                        ; implicit-def: $vgpr0
	s_and_saveexec_b64 s[4:5], s[18:19]
	s_xor_b64 s[20:21], exec, s[4:5]
	s_cbranch_execz .LBB39_53
; %bb.51:
	v_and_b32_e32 v0, 0x7fffff, v2
	v_or_b32_e32 v0, 0x800000, v0
	s_mov_b32 s4, 0xfe5163ab
	v_mad_u64_u32 v[5:6], s[4:5], v0, s4, 0
	v_mov_b32_e32 v7, 0
	s_mov_b32 s4, 0x3c439041
	v_mad_u64_u32 v[8:9], s[4:5], v0, s4, v[6:7]
	s_mov_b32 s4, 0xdb629599
	v_lshrrev_b32_e32 v3, 23, v2
	v_mov_b32_e32 v6, v9
	v_mad_u64_u32 v[9:10], s[4:5], v0, s4, v[6:7]
	s_mov_b32 s4, 0xf534ddc0
	v_add_u32_e32 v3, 0xffffff88, v3
	v_mov_b32_e32 v6, v10
	v_mad_u64_u32 v[10:11], s[4:5], v0, s4, v[6:7]
	s_mov_b32 s4, 0xfc2757d1
	v_not_b32_e32 v13, 63
	v_mov_b32_e32 v6, v11
	v_mad_u64_u32 v[11:12], s[4:5], v0, s4, v[6:7]
	v_cmp_lt_u32_e32 vcc, 63, v3
	v_cndmask_b32_e32 v6, 0, v13, vcc
	v_add_u32_e32 v3, v6, v3
	v_mov_b32_e32 v6, v12
	s_mov_b32 s4, 0x4e441529
	v_mad_u64_u32 v[12:13], s[4:5], v0, s4, v[6:7]
	v_not_b32_e32 v14, 31
	v_cmp_lt_u32_e64 s[4:5], 31, v3
	v_cndmask_b32_e64 v6, 0, v14, s[4:5]
	v_add_u32_e32 v3, v6, v3
	v_mov_b32_e32 v6, v13
	s_mov_b32 s6, 0xa2f9836e
	v_mad_u64_u32 v[6:7], s[6:7], v0, s6, v[6:7]
	v_cmp_lt_u32_e64 s[6:7], 31, v3
	v_cndmask_b32_e64 v0, 0, v14, s[6:7]
	v_add_u32_e32 v0, v0, v3
	v_cndmask_b32_e32 v3, v12, v10, vcc
	v_cndmask_b32_e32 v6, v6, v11, vcc
	;; [unrolled: 1-line block ×3, first 2 shown]
	v_cndmask_b32_e64 v13, v6, v3, s[4:5]
	v_cndmask_b32_e64 v6, v7, v6, s[4:5]
	v_cndmask_b32_e32 v7, v11, v9, vcc
	v_cndmask_b32_e64 v3, v3, v7, s[4:5]
	v_sub_u32_e32 v12, 32, v0
	v_cmp_eq_u32_e64 s[8:9], 0, v0
	v_cndmask_b32_e32 v0, v10, v8, vcc
	v_cndmask_b32_e64 v6, v6, v13, s[6:7]
	v_cndmask_b32_e64 v11, v13, v3, s[6:7]
	;; [unrolled: 1-line block ×3, first 2 shown]
	v_alignbit_b32 v13, v6, v11, v12
	v_cndmask_b32_e64 v3, v3, v7, s[6:7]
	v_cndmask_b32_e64 v6, v13, v6, s[8:9]
	v_alignbit_b32 v8, v11, v3, v12
	v_cndmask_b32_e32 v5, v9, v5, vcc
	v_cndmask_b32_e64 v8, v8, v11, s[8:9]
	v_bfe_u32 v13, v6, 29, 1
	v_cndmask_b32_e64 v0, v0, v5, s[4:5]
	v_alignbit_b32 v10, v6, v8, 30
	v_sub_u32_e32 v14, 0, v13
	v_cndmask_b32_e64 v0, v7, v0, s[6:7]
	v_xor_b32_e32 v10, v10, v14
	v_alignbit_b32 v5, v3, v0, v12
	v_cndmask_b32_e64 v3, v5, v3, s[8:9]
	v_ffbh_u32_e32 v7, v10
	v_alignbit_b32 v5, v8, v3, 30
	v_min_u32_e32 v7, 32, v7
	v_alignbit_b32 v0, v3, v0, 30
	v_xor_b32_e32 v5, v5, v14
	v_sub_u32_e32 v8, 31, v7
	v_xor_b32_e32 v0, v0, v14
	v_alignbit_b32 v9, v10, v5, v8
	v_alignbit_b32 v0, v5, v0, v8
	;; [unrolled: 1-line block ×3, first 2 shown]
	v_ffbh_u32_e32 v5, v3
	v_min_u32_e32 v5, 32, v5
	v_lshrrev_b32_e32 v11, 29, v6
	v_not_b32_e32 v8, v5
	v_alignbit_b32 v0, v3, v0, v8
	v_lshlrev_b32_e32 v3, 31, v11
	v_or_b32_e32 v8, 0x33000000, v3
	v_add_lshl_u32 v5, v5, v7, 23
	v_lshrrev_b32_e32 v0, 9, v0
	v_sub_u32_e32 v5, v8, v5
	v_or_b32_e32 v3, 0.5, v3
	v_lshlrev_b32_e32 v7, 23, v7
	v_or_b32_e32 v0, v5, v0
	v_lshrrev_b32_e32 v5, 9, v9
	v_sub_u32_e32 v3, v3, v7
	v_or_b32_e32 v3, v5, v3
	s_mov_b32 s4, 0x3fc90fda
	v_mul_f32_e32 v5, 0x3fc90fda, v3
	v_fma_f32 v7, v3, s4, -v5
	v_fmac_f32_e32 v7, 0x33a22168, v3
	v_fmac_f32_e32 v7, 0x3fc90fda, v0
	v_lshrrev_b32_e32 v3, 30, v6
	v_add_f32_e32 v0, v5, v7
	v_add_u32_e32 v3, v13, v3
	s_andn2_saveexec_b64 s[4:5], s[20:21]
	s_cbranch_execz .LBB39_55
	s_branch .LBB39_54
.LBB39_52:
	s_or_b64 exec, exec, s[16:17]
                                        ; implicit-def: $vgpr4
                                        ; implicit-def: $vgpr3
	s_andn2_saveexec_b64 s[4:5], s[14:15]
	s_cbranch_execnz .LBB39_61
	s_branch .LBB39_66
.LBB39_53:
	s_andn2_saveexec_b64 s[4:5], s[20:21]
	s_cbranch_execz .LBB39_55
.LBB39_54:
	s_mov_b32 s6, 0x3f22f983
	v_mul_f32_e64 v0, |v1|, s6
	v_rndne_f32_e32 v5, v0
	s_mov_b32 s6, 0xbfc90fda
	v_cvt_i32_f32_e32 v3, v5
	v_fma_f32 v0, v5, s6, |v1|
	v_fmac_f32_e32 v0, 0xb3a22168, v5
	v_fmac_f32_e32 v0, 0xa7c234c4, v5
.LBB39_55:
	s_or_b64 exec, exec, s[4:5]
                                        ; implicit-def: $vgpr5
                                        ; implicit-def: $vgpr6
	s_and_saveexec_b64 s[4:5], s[18:19]
	s_xor_b64 s[18:19], exec, s[4:5]
	s_cbranch_execz .LBB39_57
; %bb.56:
	v_and_b32_e32 v5, 0x7fffff, v2
	v_or_b32_e32 v14, 0x800000, v5
	s_mov_b32 s4, 0xfe5163ab
	v_mad_u64_u32 v[5:6], s[4:5], v14, s4, 0
	v_mov_b32_e32 v7, 0
	s_mov_b32 s4, 0x3c439041
	v_mad_u64_u32 v[8:9], s[4:5], v14, s4, v[6:7]
	s_mov_b32 s4, 0xdb629599
	v_not_b32_e32 v13, 63
	v_mov_b32_e32 v6, v9
	v_mad_u64_u32 v[9:10], s[4:5], v14, s4, v[6:7]
	s_mov_b32 s4, 0xf534ddc0
	v_not_b32_e32 v16, 31
	v_mov_b32_e32 v6, v10
	v_mad_u64_u32 v[10:11], s[4:5], v14, s4, v[6:7]
	v_lshrrev_b32_e32 v6, 23, v2
	v_add_u32_e32 v15, 0xffffff88, v6
	v_mov_b32_e32 v6, v11
	s_mov_b32 s4, 0xfc2757d1
	v_mad_u64_u32 v[11:12], s[4:5], v14, s4, v[6:7]
	v_cmp_lt_u32_e32 vcc, 63, v15
	v_cndmask_b32_e32 v6, 0, v13, vcc
	v_add_u32_e32 v15, v6, v15
	v_mov_b32_e32 v6, v12
	s_mov_b32 s4, 0x4e441529
	v_mad_u64_u32 v[12:13], s[4:5], v14, s4, v[6:7]
	v_cmp_lt_u32_e64 s[4:5], 31, v15
	v_cndmask_b32_e64 v6, 0, v16, s[4:5]
	v_add_u32_e32 v15, v6, v15
	v_mov_b32_e32 v6, v13
	s_mov_b32 s6, 0xa2f9836e
	v_mad_u64_u32 v[6:7], s[6:7], v14, s6, v[6:7]
	v_cmp_lt_u32_e64 s[6:7], 31, v15
	v_cndmask_b32_e64 v13, 0, v16, s[6:7]
	v_cndmask_b32_e32 v14, v12, v10, vcc
	v_cndmask_b32_e32 v6, v6, v11, vcc
	;; [unrolled: 1-line block ×3, first 2 shown]
	v_add_u32_e32 v13, v13, v15
	v_cndmask_b32_e64 v15, v6, v14, s[4:5]
	v_cndmask_b32_e64 v6, v7, v6, s[4:5]
	v_cndmask_b32_e32 v7, v11, v9, vcc
	v_cndmask_b32_e64 v11, v14, v7, s[4:5]
	v_cndmask_b32_e64 v6, v6, v15, s[6:7]
	;; [unrolled: 1-line block ×3, first 2 shown]
	v_sub_u32_e32 v14, 32, v13
	v_alignbit_b32 v15, v6, v12, v14
	v_cmp_eq_u32_e64 s[8:9], 0, v13
	v_cndmask_b32_e64 v13, v15, v6, s[8:9]
	v_cndmask_b32_e32 v6, v10, v8, vcc
	v_cndmask_b32_e64 v7, v7, v6, s[4:5]
	v_cndmask_b32_e64 v8, v11, v7, s[6:7]
	v_alignbit_b32 v10, v12, v8, v14
	v_cndmask_b32_e32 v5, v9, v5, vcc
	v_cndmask_b32_e64 v10, v10, v12, s[8:9]
	v_bfe_u32 v15, v13, 29, 1
	v_cndmask_b32_e64 v5, v6, v5, s[4:5]
	v_alignbit_b32 v11, v13, v10, 30
	v_sub_u32_e32 v16, 0, v15
	v_cndmask_b32_e64 v5, v7, v5, s[6:7]
	v_xor_b32_e32 v11, v11, v16
	v_alignbit_b32 v6, v8, v5, v14
	v_cndmask_b32_e64 v6, v6, v8, s[8:9]
	v_ffbh_u32_e32 v8, v11
	v_alignbit_b32 v7, v10, v6, 30
	v_min_u32_e32 v8, 32, v8
	v_alignbit_b32 v5, v6, v5, 30
	v_xor_b32_e32 v7, v7, v16
	v_sub_u32_e32 v9, 31, v8
	v_xor_b32_e32 v5, v5, v16
	v_alignbit_b32 v10, v11, v7, v9
	v_alignbit_b32 v5, v7, v5, v9
	;; [unrolled: 1-line block ×3, first 2 shown]
	v_ffbh_u32_e32 v7, v6
	v_min_u32_e32 v7, 32, v7
	v_lshrrev_b32_e32 v12, 29, v13
	v_not_b32_e32 v9, v7
	v_alignbit_b32 v5, v6, v5, v9
	v_lshlrev_b32_e32 v6, 31, v12
	v_or_b32_e32 v9, 0x33000000, v6
	v_add_lshl_u32 v7, v7, v8, 23
	v_lshrrev_b32_e32 v5, 9, v5
	v_sub_u32_e32 v7, v9, v7
	v_or_b32_e32 v6, 0.5, v6
	v_lshlrev_b32_e32 v8, 23, v8
	v_or_b32_e32 v5, v7, v5
	v_lshrrev_b32_e32 v7, 9, v10
	v_sub_u32_e32 v6, v6, v8
	v_or_b32_e32 v6, v7, v6
	s_mov_b32 s4, 0x3fc90fda
	v_mul_f32_e32 v7, 0x3fc90fda, v6
	v_fma_f32 v8, v6, s4, -v7
	v_fmac_f32_e32 v8, 0x33a22168, v6
	v_fmac_f32_e32 v8, 0x3fc90fda, v5
	v_lshrrev_b32_e32 v5, 30, v13
	v_add_f32_e32 v6, v7, v8
	v_add_u32_e32 v5, v15, v5
	s_andn2_saveexec_b64 s[4:5], s[18:19]
	s_cbranch_execnz .LBB39_58
	s_branch .LBB39_59
.LBB39_57:
	s_andn2_saveexec_b64 s[4:5], s[18:19]
	s_cbranch_execz .LBB39_59
.LBB39_58:
	s_mov_b32 s6, 0x3f22f983
	v_mul_f32_e64 v5, |v1|, s6
	v_rndne_f32_e32 v7, v5
	s_mov_b32 s6, 0xbfc90fda
	v_cvt_i32_f32_e32 v5, v7
	v_fma_f32 v6, v7, s6, |v1|
	v_fmac_f32_e32 v6, 0xb3a22168, v7
	v_fmac_f32_e32 v6, 0xa7c234c4, v7
.LBB39_59:
	s_or_b64 exec, exec, s[4:5]
	v_mul_f32_e32 v8, v0, v0
	v_mov_b32_e32 v10, 0xbab64f3b
	v_fmac_f32_e32 v10, 0x37d75334, v8
	v_mov_b32_e32 v11, 0x3d2aabf7
	v_mov_b32_e32 v14, 0x3c0881c4
	v_fma_f32 v10, v8, v10, v11
	v_mov_b32_e32 v12, 0xbf000004
	v_fmac_f32_e32 v14, 0xb94c1982, v8
	v_mov_b32_e32 v15, 0xbe2aaa9d
	v_fma_f32 v10, v8, v10, v12
	v_fma_f32 v14, v8, v14, v15
	v_lshlrev_b32_e32 v7, 30, v3
	v_and_b32_e32 v3, 1, v3
	v_fma_f32 v10, v8, v10, 1.0
	v_mul_f32_e32 v8, v8, v14
	v_fmac_f32_e32 v0, v0, v8
	v_cmp_eq_u32_e32 vcc, 0, v3
	v_add_f32_e32 v3, 0xc322e3bc, v4
	v_and_b32_e32 v7, 0x80000000, v7
	v_cndmask_b32_e64 v0, -v0, v10, vcc
	s_mov_b32 s5, 0x3fb8aa3b
	v_mul_f32_e32 v4, 0x3fb8aa3b, v3
	v_xor_b32_e32 v0, v7, v0
	v_fma_f32 v7, v3, s5, -v4
	v_rndne_f32_e32 v8, v4
	v_fmac_f32_e32 v7, 0x32a5705f, v3
	v_sub_f32_e32 v4, v4, v8
	v_add_f32_e32 v4, v4, v7
	v_exp_f32_e32 v4, v4
	v_cvt_i32_f32_e32 v7, v8
	s_movk_i32 s4, 0x1f8
	v_cmp_class_f32_e64 vcc, v1, s4
	s_mov_b32 s4, 0xc2ce8ed0
	v_ldexp_f32 v4, v4, v7
	v_cmp_ngt_f32_e64 s[4:5], s4, v3
	v_cndmask_b32_e64 v4, 0, v4, s[4:5]
	s_mov_b32 s4, 0x42b17218
	v_mov_b32_e32 v7, 0x7f800000
	v_cmp_nlt_f32_e64 s[4:5], s4, v3
	v_cndmask_b32_e64 v3, v7, v4, s[4:5]
	v_and_b32_e32 v4, 0x7fffff, v3
	v_lshrrev_b32_e32 v3, 23, v3
	v_subrev_u32_e32 v3, 19, v3
	v_lshrrev_b16_e32 v7, 15, v3
	v_add_u16_e32 v7, v3, v7
	v_ashrrev_i16_e32 v7, 1, v7
	v_bfe_i32 v7, v7, 0, 16
	v_mov_b32_e32 v9, 0xbab64f3b
	v_mov_b32_e32 v13, 0x3c0881c4
	v_lshl_add_u32 v10, v7, 23, 1.0
	v_sub_u32_e32 v3, v3, v7
	v_mul_f32_e32 v7, v6, v6
	v_fmac_f32_e32 v13, 0xb94c1982, v7
	v_fmac_f32_e32 v9, 0x37d75334, v7
	;; [unrolled: 1-line block ×4, first 2 shown]
	v_mul_f32_e32 v13, v7, v15
	v_fmac_f32_e32 v12, v7, v11
	v_and_b32_e32 v9, 1, v5
	s_brev_b32 s6, 1
	v_fmac_f32_e32 v6, v6, v13
	v_fma_f32 v7, v7, v12, 1.0
	v_cmp_eq_u32_e64 s[4:5], 0, v9
	v_lshlrev_b32_e32 v5, 30, v5
	v_cndmask_b32_e64 v6, v7, v6, s[4:5]
	v_and_or_b32 v2, v5, s6, v2
	v_xor_b32_e32 v2, v2, v6
	v_mov_b32_e32 v8, 0x7fc00000
	v_xor_b32_e32 v1, v2, v1
	v_cndmask_b32_e32 v0, v8, v0, vcc
	v_or_b32_e32 v4, 0x7f000000, v4
	v_cndmask_b32_e32 v1, v8, v1, vcc
	v_mul_f32_e32 v0, v0, v4
	v_mul_f32_e32 v1, v1, v4
	;; [unrolled: 1-line block ×3, first 2 shown]
	v_lshl_add_u32 v3, v3, 23, 1.0
	v_mul_f32_e32 v1, v1, v10
	v_mul_f32_e32 v0, v0, v3
	;; [unrolled: 1-line block ×3, first 2 shown]
	s_or_b64 exec, exec, s[16:17]
                                        ; implicit-def: $vgpr4
                                        ; implicit-def: $vgpr3
.LBB39_60:
	s_andn2_saveexec_b64 s[4:5], s[14:15]
	s_cbranch_execz .LBB39_66
.LBB39_61:
	s_mov_b32 s6, 0x7f800000
	v_cmp_ne_u32_e32 vcc, s6, v3
	v_sub_f32_e32 v1, v1, v1
	s_and_saveexec_b64 s[6:7], vcc
	s_xor_b64 s[6:7], exec, s[6:7]
; %bb.62:
                                        ; implicit-def: $vgpr4
; %bb.63:
	s_or_saveexec_b64 s[6:7], s[6:7]
	v_mov_b32_e32 v0, v1
	s_xor_b64 exec, exec, s[6:7]
; %bb.64:
	v_cmp_lt_i32_e32 vcc, -1, v4
	v_cndmask_b32_e32 v0, 0, v4, vcc
	v_cndmask_b32_e32 v1, 0, v1, vcc
; %bb.65:
	s_or_b64 exec, exec, s[6:7]
.LBB39_66:
	s_or_b64 exec, exec, s[4:5]
                                        ; implicit-def: $vgpr2
.LBB39_67:
	s_andn2_saveexec_b64 s[12:13], s[12:13]
	s_cbranch_execz .LBB39_77
; %bb.68:
	s_brev_b32 s4, 18
	v_cmp_nlt_f32_e64 s[14:15], |v1|, s4
	v_lshrrev_b32_e32 v4, 23, v2
                                        ; implicit-def: $vgpr0
                                        ; implicit-def: $vgpr3
	s_and_saveexec_b64 s[4:5], s[14:15]
	s_xor_b64 s[16:17], exec, s[4:5]
	s_cbranch_execz .LBB39_70
; %bb.69:
	v_and_b32_e32 v0, 0x7fffff, v2
	v_or_b32_e32 v0, 0x800000, v0
	s_mov_b32 s4, 0xfe5163ab
	v_mad_u64_u32 v[5:6], s[4:5], v0, s4, 0
	v_mov_b32_e32 v7, 0
	s_mov_b32 s4, 0x3c439041
	v_mad_u64_u32 v[8:9], s[4:5], v0, s4, v[6:7]
	s_mov_b32 s4, 0xdb629599
	v_add_u32_e32 v3, 0xffffff88, v4
	v_mov_b32_e32 v6, v9
	v_mad_u64_u32 v[9:10], s[4:5], v0, s4, v[6:7]
	s_mov_b32 s4, 0xf534ddc0
	v_not_b32_e32 v13, 63
	v_mov_b32_e32 v6, v10
	v_mad_u64_u32 v[10:11], s[4:5], v0, s4, v[6:7]
	s_mov_b32 s4, 0xfc2757d1
	v_cmp_lt_u32_e32 vcc, 63, v3
	v_mov_b32_e32 v6, v11
	v_mad_u64_u32 v[11:12], s[4:5], v0, s4, v[6:7]
	v_cndmask_b32_e32 v6, 0, v13, vcc
	v_add_u32_e32 v3, v6, v3
	v_mov_b32_e32 v6, v12
	s_mov_b32 s4, 0x4e441529
	v_mad_u64_u32 v[12:13], s[4:5], v0, s4, v[6:7]
	v_not_b32_e32 v14, 31
	v_cmp_lt_u32_e64 s[4:5], 31, v3
	v_cndmask_b32_e64 v6, 0, v14, s[4:5]
	v_add_u32_e32 v3, v6, v3
	v_mov_b32_e32 v6, v13
	s_mov_b32 s6, 0xa2f9836e
	v_mad_u64_u32 v[6:7], s[6:7], v0, s6, v[6:7]
	v_cmp_lt_u32_e64 s[6:7], 31, v3
	v_cndmask_b32_e64 v0, 0, v14, s[6:7]
	v_add_u32_e32 v0, v0, v3
	v_cndmask_b32_e32 v3, v12, v10, vcc
	v_cndmask_b32_e32 v6, v6, v11, vcc
	v_cndmask_b32_e32 v7, v7, v12, vcc
	v_cndmask_b32_e64 v13, v6, v3, s[4:5]
	v_cndmask_b32_e64 v6, v7, v6, s[4:5]
	v_cndmask_b32_e32 v7, v11, v9, vcc
	v_cndmask_b32_e64 v3, v3, v7, s[4:5]
	v_cndmask_b32_e64 v6, v6, v13, s[6:7]
	;; [unrolled: 1-line block ×3, first 2 shown]
	v_sub_u32_e32 v12, 32, v0
	v_alignbit_b32 v13, v6, v11, v12
	v_cmp_eq_u32_e64 s[8:9], 0, v0
	v_cndmask_b32_e64 v0, v13, v6, s[8:9]
	v_cndmask_b32_e32 v6, v10, v8, vcc
	v_cndmask_b32_e64 v7, v7, v6, s[4:5]
	v_cndmask_b32_e64 v3, v3, v7, s[6:7]
	v_alignbit_b32 v8, v11, v3, v12
	v_cndmask_b32_e32 v5, v9, v5, vcc
	v_cndmask_b32_e64 v8, v8, v11, s[8:9]
	v_bfe_u32 v13, v0, 29, 1
	v_cndmask_b32_e64 v5, v6, v5, s[4:5]
	v_alignbit_b32 v10, v0, v8, 30
	v_sub_u32_e32 v14, 0, v13
	v_cndmask_b32_e64 v5, v7, v5, s[6:7]
	v_xor_b32_e32 v10, v10, v14
	v_alignbit_b32 v6, v3, v5, v12
	v_cndmask_b32_e64 v3, v6, v3, s[8:9]
	v_ffbh_u32_e32 v7, v10
	v_alignbit_b32 v6, v8, v3, 30
	v_min_u32_e32 v7, 32, v7
	v_alignbit_b32 v3, v3, v5, 30
	v_xor_b32_e32 v6, v6, v14
	v_sub_u32_e32 v8, 31, v7
	v_xor_b32_e32 v3, v3, v14
	v_alignbit_b32 v9, v10, v6, v8
	v_alignbit_b32 v3, v6, v3, v8
	;; [unrolled: 1-line block ×3, first 2 shown]
	v_ffbh_u32_e32 v6, v5
	v_min_u32_e32 v6, 32, v6
	v_lshrrev_b32_e32 v11, 29, v0
	v_not_b32_e32 v8, v6
	v_alignbit_b32 v3, v5, v3, v8
	v_lshlrev_b32_e32 v5, 31, v11
	v_or_b32_e32 v8, 0x33000000, v5
	v_add_lshl_u32 v6, v6, v7, 23
	v_lshrrev_b32_e32 v3, 9, v3
	v_sub_u32_e32 v6, v8, v6
	v_or_b32_e32 v5, 0.5, v5
	v_lshlrev_b32_e32 v7, 23, v7
	v_or_b32_e32 v3, v6, v3
	v_lshrrev_b32_e32 v6, 9, v9
	v_sub_u32_e32 v5, v5, v7
	v_or_b32_e32 v5, v6, v5
	s_mov_b32 s4, 0x3fc90fda
	v_mul_f32_e32 v6, 0x3fc90fda, v5
	v_fma_f32 v7, v5, s4, -v6
	v_fmac_f32_e32 v7, 0x33a22168, v5
	v_fmac_f32_e32 v7, 0x3fc90fda, v3
	v_lshrrev_b32_e32 v0, 30, v0
	v_add_f32_e32 v3, v6, v7
	v_add_u32_e32 v0, v13, v0
	s_andn2_saveexec_b64 s[4:5], s[16:17]
	s_cbranch_execz .LBB39_72
	s_branch .LBB39_71
.LBB39_70:
	s_andn2_saveexec_b64 s[4:5], s[16:17]
	s_cbranch_execz .LBB39_72
.LBB39_71:
	s_mov_b32 s6, 0x3f22f983
	v_mul_f32_e64 v0, |v1|, s6
	v_rndne_f32_e32 v5, v0
	s_mov_b32 s6, 0xbfc90fda
	v_cvt_i32_f32_e32 v0, v5
	v_fma_f32 v3, v5, s6, |v1|
	v_fmac_f32_e32 v3, 0xb3a22168, v5
	v_fmac_f32_e32 v3, 0xa7c234c4, v5
.LBB39_72:
	s_or_b64 exec, exec, s[4:5]
                                        ; implicit-def: $vgpr5
                                        ; implicit-def: $vgpr6
	s_and_saveexec_b64 s[4:5], s[14:15]
	s_xor_b64 s[14:15], exec, s[4:5]
	s_cbranch_execz .LBB39_74
; %bb.73:
	v_and_b32_e32 v5, 0x7fffff, v2
	v_or_b32_e32 v14, 0x800000, v5
	s_mov_b32 s4, 0xfe5163ab
	v_mad_u64_u32 v[5:6], s[4:5], v14, s4, 0
	v_mov_b32_e32 v7, 0
	s_mov_b32 s4, 0x3c439041
	v_mad_u64_u32 v[8:9], s[4:5], v14, s4, v[6:7]
	s_mov_b32 s4, 0xdb629599
	v_add_u32_e32 v4, 0xffffff88, v4
	v_mov_b32_e32 v6, v9
	v_mad_u64_u32 v[9:10], s[4:5], v14, s4, v[6:7]
	s_mov_b32 s4, 0xf534ddc0
	v_not_b32_e32 v13, 63
	v_mov_b32_e32 v6, v10
	v_mad_u64_u32 v[10:11], s[4:5], v14, s4, v[6:7]
	s_mov_b32 s4, 0xfc2757d1
	v_cmp_lt_u32_e32 vcc, 63, v4
	v_mov_b32_e32 v6, v11
	v_mad_u64_u32 v[11:12], s[4:5], v14, s4, v[6:7]
	v_cndmask_b32_e32 v6, 0, v13, vcc
	v_add_u32_e32 v4, v6, v4
	v_mov_b32_e32 v6, v12
	s_mov_b32 s4, 0x4e441529
	v_mad_u64_u32 v[12:13], s[4:5], v14, s4, v[6:7]
	v_not_b32_e32 v15, 31
	v_cmp_lt_u32_e64 s[4:5], 31, v4
	v_cndmask_b32_e64 v6, 0, v15, s[4:5]
	v_add_u32_e32 v4, v6, v4
	v_mov_b32_e32 v6, v13
	s_mov_b32 s6, 0xa2f9836e
	v_mad_u64_u32 v[6:7], s[6:7], v14, s6, v[6:7]
	v_cmp_lt_u32_e64 s[6:7], 31, v4
	v_cndmask_b32_e64 v13, 0, v15, s[6:7]
	v_add_u32_e32 v4, v13, v4
	v_cndmask_b32_e32 v13, v12, v10, vcc
	v_cndmask_b32_e32 v6, v6, v11, vcc
	;; [unrolled: 1-line block ×3, first 2 shown]
	v_cndmask_b32_e64 v14, v6, v13, s[4:5]
	v_cndmask_b32_e64 v6, v7, v6, s[4:5]
	v_cndmask_b32_e32 v7, v11, v9, vcc
	v_cndmask_b32_e64 v11, v13, v7, s[4:5]
	v_cndmask_b32_e64 v6, v6, v14, s[6:7]
	;; [unrolled: 1-line block ×3, first 2 shown]
	v_sub_u32_e32 v13, 32, v4
	v_alignbit_b32 v14, v6, v12, v13
	v_cmp_eq_u32_e64 s[8:9], 0, v4
	v_cndmask_b32_e64 v4, v14, v6, s[8:9]
	v_cndmask_b32_e32 v6, v10, v8, vcc
	v_cndmask_b32_e64 v7, v7, v6, s[4:5]
	v_cndmask_b32_e64 v8, v11, v7, s[6:7]
	v_alignbit_b32 v10, v12, v8, v13
	v_cndmask_b32_e32 v5, v9, v5, vcc
	v_cndmask_b32_e64 v10, v10, v12, s[8:9]
	v_bfe_u32 v14, v4, 29, 1
	v_cndmask_b32_e64 v5, v6, v5, s[4:5]
	v_alignbit_b32 v11, v4, v10, 30
	v_sub_u32_e32 v15, 0, v14
	v_cndmask_b32_e64 v5, v7, v5, s[6:7]
	v_xor_b32_e32 v11, v11, v15
	v_alignbit_b32 v6, v8, v5, v13
	v_cndmask_b32_e64 v6, v6, v8, s[8:9]
	v_ffbh_u32_e32 v8, v11
	v_alignbit_b32 v7, v10, v6, 30
	v_min_u32_e32 v8, 32, v8
	v_alignbit_b32 v5, v6, v5, 30
	v_xor_b32_e32 v7, v7, v15
	v_sub_u32_e32 v9, 31, v8
	v_xor_b32_e32 v5, v5, v15
	v_alignbit_b32 v10, v11, v7, v9
	v_alignbit_b32 v5, v7, v5, v9
	;; [unrolled: 1-line block ×3, first 2 shown]
	v_ffbh_u32_e32 v7, v6
	v_min_u32_e32 v7, 32, v7
	v_lshrrev_b32_e32 v12, 29, v4
	v_not_b32_e32 v9, v7
	v_alignbit_b32 v5, v6, v5, v9
	v_lshlrev_b32_e32 v6, 31, v12
	v_or_b32_e32 v9, 0x33000000, v6
	v_add_lshl_u32 v7, v7, v8, 23
	v_lshrrev_b32_e32 v5, 9, v5
	v_sub_u32_e32 v7, v9, v7
	v_or_b32_e32 v6, 0.5, v6
	v_lshlrev_b32_e32 v8, 23, v8
	v_or_b32_e32 v5, v7, v5
	v_lshrrev_b32_e32 v7, 9, v10
	v_sub_u32_e32 v6, v6, v8
	v_or_b32_e32 v6, v7, v6
	s_mov_b32 s4, 0x3fc90fda
	v_mul_f32_e32 v7, 0x3fc90fda, v6
	v_fma_f32 v8, v6, s4, -v7
	v_fmac_f32_e32 v8, 0x33a22168, v6
	v_fmac_f32_e32 v8, 0x3fc90fda, v5
	v_lshrrev_b32_e32 v4, 30, v4
	v_add_f32_e32 v6, v7, v8
	v_add_u32_e32 v5, v14, v4
	s_andn2_saveexec_b64 s[4:5], s[14:15]
	s_cbranch_execnz .LBB39_75
	s_branch .LBB39_76
.LBB39_74:
	s_andn2_saveexec_b64 s[4:5], s[14:15]
	s_cbranch_execz .LBB39_76
.LBB39_75:
	s_mov_b32 s6, 0x3f22f983
	v_mul_f32_e64 v4, |v1|, s6
	v_rndne_f32_e32 v4, v4
	s_mov_b32 s6, 0xbfc90fda
	v_cvt_i32_f32_e32 v5, v4
	v_fma_f32 v6, v4, s6, |v1|
	v_fmac_f32_e32 v6, 0xb3a22168, v4
	v_fmac_f32_e32 v6, 0xa7c234c4, v4
.LBB39_76:
	s_or_b64 exec, exec, s[4:5]
	v_mul_f32_e32 v4, v3, v3
	v_mov_b32_e32 v10, 0xbab64f3b
	v_mov_b32_e32 v8, 0x3c0881c4
	v_fmac_f32_e32 v10, 0x37d75334, v4
	v_mov_b32_e32 v11, 0x3d2aabf7
	v_fmac_f32_e32 v8, 0xb94c1982, v4
	v_mov_b32_e32 v9, 0xbe2aaa9d
	v_fma_f32 v10, v4, v10, v11
	v_mov_b32_e32 v12, 0xbf000004
	v_fma_f32 v8, v4, v8, v9
	v_fma_f32 v10, v4, v10, v12
	v_mul_f32_e32 v8, v4, v8
	v_fma_f32 v4, v4, v10, 1.0
	v_and_b32_e32 v10, 1, v0
	v_fmac_f32_e32 v3, v3, v8
	v_cmp_eq_u32_e32 vcc, 0, v10
	v_mov_b32_e32 v7, 0x3c0881c4
	v_cndmask_b32_e64 v3, -v3, v4, vcc
	v_mul_f32_e32 v4, v6, v6
	v_mov_b32_e32 v8, 0xbab64f3b
	v_fmac_f32_e32 v7, 0xb94c1982, v4
	v_fmac_f32_e32 v9, v4, v7
	;; [unrolled: 1-line block ×3, first 2 shown]
	v_mul_f32_e32 v7, v4, v9
	v_fmac_f32_e32 v11, v4, v8
	s_movk_i32 s4, 0x1f8
	v_fmac_f32_e32 v6, v6, v7
	v_fmac_f32_e32 v12, v4, v11
	v_and_b32_e32 v7, 1, v5
	s_brev_b32 s6, 1
	v_cmp_class_f32_e64 vcc, v1, s4
	v_fma_f32 v4, v4, v12, 1.0
	v_cmp_eq_u32_e64 s[4:5], 0, v7
	v_lshlrev_b32_e32 v5, 30, v5
	v_lshlrev_b32_e32 v0, 30, v0
	v_cndmask_b32_e64 v4, v4, v6, s[4:5]
	v_and_or_b32 v2, v5, s6, v2
	v_and_b32_e32 v0, 0x80000000, v0
	v_xor_b32_e32 v2, v2, v4
	v_xor_b32_e32 v0, v0, v3
	v_mov_b32_e32 v3, 0x7fc00000
	v_xor_b32_e32 v1, v2, v1
	v_cndmask_b32_e32 v0, v3, v0, vcc
	v_cndmask_b32_e32 v1, v3, v1, vcc
.LBB39_77:
	s_or_b64 exec, exec, s[12:13]
                                        ; implicit-def: $vgpr4
	s_andn2_saveexec_b64 s[4:5], s[10:11]
	s_cbranch_execnz .LBB39_41
.LBB39_78:
	s_or_b64 exec, exec, s[4:5]
	s_setpc_b64 s[30:31]
.Lfunc_end39:
	.size	_ZN16c10_complex_math3powIfEEN3c107complexIT_EERKS4_S6_, .Lfunc_end39-_ZN16c10_complex_math3powIfEEN3c107complexIT_EERKS4_S6_
                                        ; -- End function
	.set .L_ZN16c10_complex_math3powIfEEN3c107complexIT_EERKS4_S6_.num_vgpr, 19
	.set .L_ZN16c10_complex_math3powIfEEN3c107complexIT_EERKS4_S6_.num_agpr, 0
	.set .L_ZN16c10_complex_math3powIfEEN3c107complexIT_EERKS4_S6_.numbered_sgpr, 32
	.set .L_ZN16c10_complex_math3powIfEEN3c107complexIT_EERKS4_S6_.num_named_barrier, 0
	.set .L_ZN16c10_complex_math3powIfEEN3c107complexIT_EERKS4_S6_.private_seg_size, 0
	.set .L_ZN16c10_complex_math3powIfEEN3c107complexIT_EERKS4_S6_.uses_vcc, 1
	.set .L_ZN16c10_complex_math3powIfEEN3c107complexIT_EERKS4_S6_.uses_flat_scratch, 0
	.set .L_ZN16c10_complex_math3powIfEEN3c107complexIT_EERKS4_S6_.has_dyn_sized_stack, 0
	.set .L_ZN16c10_complex_math3powIfEEN3c107complexIT_EERKS4_S6_.has_recursion, 0
	.set .L_ZN16c10_complex_math3powIfEEN3c107complexIT_EERKS4_S6_.has_indirect_call, 0
	.section	.AMDGPU.csdata,"",@progbits
; Function info:
; codeLenInByte = 10816
; TotalNumSgprs: 36
; NumVgprs: 19
; ScratchSize: 0
; MemoryBound: 0
	.section	.text._ZN12_GLOBAL__N_141elementwise_kernel_with_index_grid_strideIiZZZN2at6native17logspace_cuda_outERKN3c106ScalarES6_ldRNS1_6TensorEENKUlvE0_clEvENKUlvE2_clEvEUllE_EEvT_T0_PN15function_traitsISD_E11result_typeE,"axG",@progbits,_ZN12_GLOBAL__N_141elementwise_kernel_with_index_grid_strideIiZZZN2at6native17logspace_cuda_outERKN3c106ScalarES6_ldRNS1_6TensorEENKUlvE0_clEvENKUlvE2_clEvEUllE_EEvT_T0_PN15function_traitsISD_E11result_typeE,comdat
	.globl	_ZN12_GLOBAL__N_141elementwise_kernel_with_index_grid_strideIiZZZN2at6native17logspace_cuda_outERKN3c106ScalarES6_ldRNS1_6TensorEENKUlvE0_clEvENKUlvE2_clEvEUllE_EEvT_T0_PN15function_traitsISD_E11result_typeE ; -- Begin function _ZN12_GLOBAL__N_141elementwise_kernel_with_index_grid_strideIiZZZN2at6native17logspace_cuda_outERKN3c106ScalarES6_ldRNS1_6TensorEENKUlvE0_clEvENKUlvE2_clEvEUllE_EEvT_T0_PN15function_traitsISD_E11result_typeE
	.p2align	8
	.type	_ZN12_GLOBAL__N_141elementwise_kernel_with_index_grid_strideIiZZZN2at6native17logspace_cuda_outERKN3c106ScalarES6_ldRNS1_6TensorEENKUlvE0_clEvENKUlvE2_clEvEUllE_EEvT_T0_PN15function_traitsISD_E11result_typeE,@function
_ZN12_GLOBAL__N_141elementwise_kernel_with_index_grid_strideIiZZZN2at6native17logspace_cuda_outERKN3c106ScalarES6_ldRNS1_6TensorEENKUlvE0_clEvENKUlvE2_clEvEUllE_EEvT_T0_PN15function_traitsISD_E11result_typeE: ; @_ZN12_GLOBAL__N_141elementwise_kernel_with_index_grid_strideIiZZZN2at6native17logspace_cuda_outERKN3c106ScalarES6_ldRNS1_6TensorEENKUlvE0_clEvENKUlvE2_clEvEUllE_EEvT_T0_PN15function_traitsISD_E11result_typeE
; %bb.0:
	s_add_u32 s0, s0, s7
	s_load_dword s7, s[4:5], 0x4c
	s_load_dword s33, s[4:5], 0x0
	s_addc_u32 s1, s1, 0
	s_add_u32 s8, s4, 64
	s_addc_u32 s9, s5, 0
	s_waitcnt lgkmcnt(0)
	s_and_b32 s7, s7, 0xffff
	s_mul_i32 s6, s6, s7
	v_add_u32_e32 v19, s6, v0
	v_cmp_gt_i32_e32 vcc, s33, v19
	s_mov_b32 s32, 0
	s_and_saveexec_b64 s[10:11], vcc
	s_cbranch_execz .LBB40_7
; %bb.1:
	s_load_dword s6, s[8:9], 0x0
	s_load_dwordx8 s[36:43], s[4:5], 0x8
	s_load_dwordx2 s[26:27], s[4:5], 0x28
	s_load_dwordx4 s[28:31], s[4:5], 0x30
	v_ashrrev_i32_e32 v20, 31, v19
	v_not_b32_e32 v1, v19
	v_not_b32_e32 v0, v20
	s_waitcnt lgkmcnt(0)
	v_mov_b32_e32 v2, s43
	v_add_co_u32_e32 v21, vcc, s42, v1
	v_addc_co_u32_e32 v22, vcc, v0, v2, vcc
	v_lshlrev_b64 v[0:1], 3, v[19:20]
	v_mov_b32_e32 v2, s31
	v_add_co_u32_e32 v0, vcc, s30, v0
	s_mul_i32 s34, s6, s7
	v_addc_co_u32_e32 v1, vcc, v2, v1, vcc
	s_ashr_i32 s35, s34, 31
	v_add_co_u32_e32 v23, vcc, 4, v0
	v_addc_co_u32_e32 v24, vcc, 0, v1, vcc
	s_lshl_b64 s[42:43], s[34:35], 3
	s_mov_b64 s[44:45], 0
	s_branch .LBB40_3
.LBB40_2:                               ;   in Loop: Header=BB40_3 Depth=1
	s_or_b64 exec, exec, s[46:47]
	global_store_dwordx2 v[23:24], v[0:1], off offset:-4
	v_mov_b32_e32 v0, s35
	v_add_co_u32_e32 v19, vcc, s34, v19
	v_addc_co_u32_e32 v20, vcc, v20, v0, vcc
	v_subrev_co_u32_e32 v21, vcc, s34, v21
	v_subb_co_u32_e32 v22, vcc, v22, v0, vcc
	v_cmp_le_i32_e32 vcc, s33, v19
	v_mov_b32_e32 v0, s43
	s_or_b64 s[44:45], vcc, s[44:45]
	v_add_co_u32_e32 v23, vcc, s42, v23
	v_addc_co_u32_e32 v24, vcc, v24, v0, vcc
	s_andn2_b64 exec, exec, s[44:45]
	s_cbranch_execz .LBB40_7
.LBB40_3:                               ; =>This Inner Loop Header: Depth=1
	v_cmp_le_i64_e32 vcc, s[28:29], v[19:20]
                                        ; implicit-def: $vgpr0
	s_and_saveexec_b64 s[4:5], vcc
	s_xor_b64 s[46:47], exec, s[4:5]
	s_cbranch_execz .LBB40_5
; %bb.4:                                ;   in Loop: Header=BB40_3 Depth=1
	v_xor_b32_e32 v1, v21, v22
	v_ffbh_i32_e32 v0, v22
	v_ashrrev_i32_e32 v1, 31, v1
	v_add_u32_e32 v0, -1, v0
	v_add_u32_e32 v1, 32, v1
	v_min_u32_e32 v2, v0, v1
	v_lshlrev_b64 v[0:1], v2, v[21:22]
	v_sub_u32_e32 v2, 32, v2
	v_min_u32_e32 v0, 1, v0
	v_or_b32_e32 v0, v1, v0
	v_cvt_f32_i32_e32 v0, v0
	v_mov_b32_e32 v1, s38
	s_getpc_b64 s[4:5]
	s_add_u32 s4, s4, _ZN16c10_complex_math3powIfEEN3c107complexIT_EERKS4_S6_@rel32@lo+4
	s_addc_u32 s5, s5, _ZN16c10_complex_math3powIfEEN3c107complexIT_EERKS4_S6_@rel32@hi+12
	v_ldexp_f32 v0, v0, v2
	v_fma_f32 v2, -s26, v0, v1
	v_mov_b32_e32 v1, s39
	v_fma_f32 v3, -s27, v0, v1
	v_mov_b32_e32 v0, s40
	v_mov_b32_e32 v1, s41
	s_swappc_b64 s[30:31], s[4:5]
.LBB40_5:                               ;   in Loop: Header=BB40_3 Depth=1
	s_andn2_saveexec_b64 s[46:47], s[46:47]
	s_cbranch_execz .LBB40_2
; %bb.6:                                ;   in Loop: Header=BB40_3 Depth=1
	v_cvt_f32_i32_e32 v0, v19
	v_mov_b32_e32 v1, s36
	v_mov_b32_e32 v3, s37
	s_getpc_b64 s[4:5]
	s_add_u32 s4, s4, _ZN16c10_complex_math3powIfEEN3c107complexIT_EERKS4_S6_@rel32@lo+4
	s_addc_u32 s5, s5, _ZN16c10_complex_math3powIfEEN3c107complexIT_EERKS4_S6_@rel32@hi+12
	v_fma_f32 v2, s26, v0, v1
	v_fma_f32 v3, s27, v0, v3
	v_mov_b32_e32 v0, s40
	v_mov_b32_e32 v1, s41
	s_swappc_b64 s[30:31], s[4:5]
	s_branch .LBB40_2
.LBB40_7:
	s_endpgm
	.section	.rodata,"a",@progbits
	.p2align	6, 0x0
	.amdhsa_kernel _ZN12_GLOBAL__N_141elementwise_kernel_with_index_grid_strideIiZZZN2at6native17logspace_cuda_outERKN3c106ScalarES6_ldRNS1_6TensorEENKUlvE0_clEvENKUlvE2_clEvEUllE_EEvT_T0_PN15function_traitsISD_E11result_typeE
		.amdhsa_group_segment_fixed_size 0
		.amdhsa_private_segment_fixed_size 0
		.amdhsa_kernarg_size 320
		.amdhsa_user_sgpr_count 6
		.amdhsa_user_sgpr_private_segment_buffer 1
		.amdhsa_user_sgpr_dispatch_ptr 0
		.amdhsa_user_sgpr_queue_ptr 0
		.amdhsa_user_sgpr_kernarg_segment_ptr 1
		.amdhsa_user_sgpr_dispatch_id 0
		.amdhsa_user_sgpr_flat_scratch_init 0
		.amdhsa_user_sgpr_private_segment_size 0
		.amdhsa_uses_dynamic_stack 0
		.amdhsa_system_sgpr_private_segment_wavefront_offset 0
		.amdhsa_system_sgpr_workgroup_id_x 1
		.amdhsa_system_sgpr_workgroup_id_y 0
		.amdhsa_system_sgpr_workgroup_id_z 0
		.amdhsa_system_sgpr_workgroup_info 0
		.amdhsa_system_vgpr_workitem_id 0
		.amdhsa_next_free_vgpr 25
		.amdhsa_next_free_sgpr 48
		.amdhsa_reserve_vcc 1
		.amdhsa_reserve_flat_scratch 0
		.amdhsa_float_round_mode_32 0
		.amdhsa_float_round_mode_16_64 0
		.amdhsa_float_denorm_mode_32 3
		.amdhsa_float_denorm_mode_16_64 3
		.amdhsa_dx10_clamp 1
		.amdhsa_ieee_mode 1
		.amdhsa_fp16_overflow 0
		.amdhsa_exception_fp_ieee_invalid_op 0
		.amdhsa_exception_fp_denorm_src 0
		.amdhsa_exception_fp_ieee_div_zero 0
		.amdhsa_exception_fp_ieee_overflow 0
		.amdhsa_exception_fp_ieee_underflow 0
		.amdhsa_exception_fp_ieee_inexact 0
		.amdhsa_exception_int_div_zero 0
	.end_amdhsa_kernel
	.section	.text._ZN12_GLOBAL__N_141elementwise_kernel_with_index_grid_strideIiZZZN2at6native17logspace_cuda_outERKN3c106ScalarES6_ldRNS1_6TensorEENKUlvE0_clEvENKUlvE2_clEvEUllE_EEvT_T0_PN15function_traitsISD_E11result_typeE,"axG",@progbits,_ZN12_GLOBAL__N_141elementwise_kernel_with_index_grid_strideIiZZZN2at6native17logspace_cuda_outERKN3c106ScalarES6_ldRNS1_6TensorEENKUlvE0_clEvENKUlvE2_clEvEUllE_EEvT_T0_PN15function_traitsISD_E11result_typeE,comdat
.Lfunc_end40:
	.size	_ZN12_GLOBAL__N_141elementwise_kernel_with_index_grid_strideIiZZZN2at6native17logspace_cuda_outERKN3c106ScalarES6_ldRNS1_6TensorEENKUlvE0_clEvENKUlvE2_clEvEUllE_EEvT_T0_PN15function_traitsISD_E11result_typeE, .Lfunc_end40-_ZN12_GLOBAL__N_141elementwise_kernel_with_index_grid_strideIiZZZN2at6native17logspace_cuda_outERKN3c106ScalarES6_ldRNS1_6TensorEENKUlvE0_clEvENKUlvE2_clEvEUllE_EEvT_T0_PN15function_traitsISD_E11result_typeE
                                        ; -- End function
	.set _ZN12_GLOBAL__N_141elementwise_kernel_with_index_grid_strideIiZZZN2at6native17logspace_cuda_outERKN3c106ScalarES6_ldRNS1_6TensorEENKUlvE0_clEvENKUlvE2_clEvEUllE_EEvT_T0_PN15function_traitsISD_E11result_typeE.num_vgpr, max(25, .L_ZN16c10_complex_math3powIfEEN3c107complexIT_EERKS4_S6_.num_vgpr)
	.set _ZN12_GLOBAL__N_141elementwise_kernel_with_index_grid_strideIiZZZN2at6native17logspace_cuda_outERKN3c106ScalarES6_ldRNS1_6TensorEENKUlvE0_clEvENKUlvE2_clEvEUllE_EEvT_T0_PN15function_traitsISD_E11result_typeE.num_agpr, max(0, .L_ZN16c10_complex_math3powIfEEN3c107complexIT_EERKS4_S6_.num_agpr)
	.set _ZN12_GLOBAL__N_141elementwise_kernel_with_index_grid_strideIiZZZN2at6native17logspace_cuda_outERKN3c106ScalarES6_ldRNS1_6TensorEENKUlvE0_clEvENKUlvE2_clEvEUllE_EEvT_T0_PN15function_traitsISD_E11result_typeE.numbered_sgpr, max(48, .L_ZN16c10_complex_math3powIfEEN3c107complexIT_EERKS4_S6_.numbered_sgpr)
	.set _ZN12_GLOBAL__N_141elementwise_kernel_with_index_grid_strideIiZZZN2at6native17logspace_cuda_outERKN3c106ScalarES6_ldRNS1_6TensorEENKUlvE0_clEvENKUlvE2_clEvEUllE_EEvT_T0_PN15function_traitsISD_E11result_typeE.num_named_barrier, max(0, .L_ZN16c10_complex_math3powIfEEN3c107complexIT_EERKS4_S6_.num_named_barrier)
	.set _ZN12_GLOBAL__N_141elementwise_kernel_with_index_grid_strideIiZZZN2at6native17logspace_cuda_outERKN3c106ScalarES6_ldRNS1_6TensorEENKUlvE0_clEvENKUlvE2_clEvEUllE_EEvT_T0_PN15function_traitsISD_E11result_typeE.private_seg_size, 0+max(.L_ZN16c10_complex_math3powIfEEN3c107complexIT_EERKS4_S6_.private_seg_size)
	.set _ZN12_GLOBAL__N_141elementwise_kernel_with_index_grid_strideIiZZZN2at6native17logspace_cuda_outERKN3c106ScalarES6_ldRNS1_6TensorEENKUlvE0_clEvENKUlvE2_clEvEUllE_EEvT_T0_PN15function_traitsISD_E11result_typeE.uses_vcc, or(1, .L_ZN16c10_complex_math3powIfEEN3c107complexIT_EERKS4_S6_.uses_vcc)
	.set _ZN12_GLOBAL__N_141elementwise_kernel_with_index_grid_strideIiZZZN2at6native17logspace_cuda_outERKN3c106ScalarES6_ldRNS1_6TensorEENKUlvE0_clEvENKUlvE2_clEvEUllE_EEvT_T0_PN15function_traitsISD_E11result_typeE.uses_flat_scratch, or(0, .L_ZN16c10_complex_math3powIfEEN3c107complexIT_EERKS4_S6_.uses_flat_scratch)
	.set _ZN12_GLOBAL__N_141elementwise_kernel_with_index_grid_strideIiZZZN2at6native17logspace_cuda_outERKN3c106ScalarES6_ldRNS1_6TensorEENKUlvE0_clEvENKUlvE2_clEvEUllE_EEvT_T0_PN15function_traitsISD_E11result_typeE.has_dyn_sized_stack, or(0, .L_ZN16c10_complex_math3powIfEEN3c107complexIT_EERKS4_S6_.has_dyn_sized_stack)
	.set _ZN12_GLOBAL__N_141elementwise_kernel_with_index_grid_strideIiZZZN2at6native17logspace_cuda_outERKN3c106ScalarES6_ldRNS1_6TensorEENKUlvE0_clEvENKUlvE2_clEvEUllE_EEvT_T0_PN15function_traitsISD_E11result_typeE.has_recursion, or(0, .L_ZN16c10_complex_math3powIfEEN3c107complexIT_EERKS4_S6_.has_recursion)
	.set _ZN12_GLOBAL__N_141elementwise_kernel_with_index_grid_strideIiZZZN2at6native17logspace_cuda_outERKN3c106ScalarES6_ldRNS1_6TensorEENKUlvE0_clEvENKUlvE2_clEvEUllE_EEvT_T0_PN15function_traitsISD_E11result_typeE.has_indirect_call, or(0, .L_ZN16c10_complex_math3powIfEEN3c107complexIT_EERKS4_S6_.has_indirect_call)
	.section	.AMDGPU.csdata,"",@progbits
; Kernel info:
; codeLenInByte = 440
; TotalNumSgprs: 52
; NumVgprs: 25
; ScratchSize: 0
; MemoryBound: 0
; FloatMode: 240
; IeeeMode: 1
; LDSByteSize: 0 bytes/workgroup (compile time only)
; SGPRBlocks: 6
; VGPRBlocks: 6
; NumSGPRsForWavesPerEU: 52
; NumVGPRsForWavesPerEU: 25
; Occupancy: 9
; WaveLimiterHint : 0
; COMPUTE_PGM_RSRC2:SCRATCH_EN: 0
; COMPUTE_PGM_RSRC2:USER_SGPR: 6
; COMPUTE_PGM_RSRC2:TRAP_HANDLER: 0
; COMPUTE_PGM_RSRC2:TGID_X_EN: 1
; COMPUTE_PGM_RSRC2:TGID_Y_EN: 0
; COMPUTE_PGM_RSRC2:TGID_Z_EN: 0
; COMPUTE_PGM_RSRC2:TIDIG_COMP_CNT: 0
	.section	.text._ZN12_GLOBAL__N_141elementwise_kernel_with_index_grid_strideIlZZZN2at6native17logspace_cuda_outERKN3c106ScalarES6_ldRNS1_6TensorEENKUlvE0_clEvENKUlvE2_clEvEUllE_EEvT_T0_PN15function_traitsISD_E11result_typeE,"axG",@progbits,_ZN12_GLOBAL__N_141elementwise_kernel_with_index_grid_strideIlZZZN2at6native17logspace_cuda_outERKN3c106ScalarES6_ldRNS1_6TensorEENKUlvE0_clEvENKUlvE2_clEvEUllE_EEvT_T0_PN15function_traitsISD_E11result_typeE,comdat
	.globl	_ZN12_GLOBAL__N_141elementwise_kernel_with_index_grid_strideIlZZZN2at6native17logspace_cuda_outERKN3c106ScalarES6_ldRNS1_6TensorEENKUlvE0_clEvENKUlvE2_clEvEUllE_EEvT_T0_PN15function_traitsISD_E11result_typeE ; -- Begin function _ZN12_GLOBAL__N_141elementwise_kernel_with_index_grid_strideIlZZZN2at6native17logspace_cuda_outERKN3c106ScalarES6_ldRNS1_6TensorEENKUlvE0_clEvENKUlvE2_clEvEUllE_EEvT_T0_PN15function_traitsISD_E11result_typeE
	.p2align	8
	.type	_ZN12_GLOBAL__N_141elementwise_kernel_with_index_grid_strideIlZZZN2at6native17logspace_cuda_outERKN3c106ScalarES6_ldRNS1_6TensorEENKUlvE0_clEvENKUlvE2_clEvEUllE_EEvT_T0_PN15function_traitsISD_E11result_typeE,@function
_ZN12_GLOBAL__N_141elementwise_kernel_with_index_grid_strideIlZZZN2at6native17logspace_cuda_outERKN3c106ScalarES6_ldRNS1_6TensorEENKUlvE0_clEvENKUlvE2_clEvEUllE_EEvT_T0_PN15function_traitsISD_E11result_typeE: ; @_ZN12_GLOBAL__N_141elementwise_kernel_with_index_grid_strideIlZZZN2at6native17logspace_cuda_outERKN3c106ScalarES6_ldRNS1_6TensorEENKUlvE0_clEvENKUlvE2_clEvEUllE_EEvT_T0_PN15function_traitsISD_E11result_typeE
; %bb.0:
	s_add_u32 s0, s0, s7
	s_load_dword s7, s[4:5], 0x4c
	s_load_dwordx2 s[26:27], s[4:5], 0x0
	s_addc_u32 s1, s1, 0
	s_add_u32 s8, s4, 64
	s_addc_u32 s9, s5, 0
	s_waitcnt lgkmcnt(0)
	s_and_b32 s7, s7, 0xffff
	v_mov_b32_e32 v1, 0
	v_mov_b32_e32 v2, s6
	v_mad_u64_u32 v[19:20], s[10:11], s7, v2, v[0:1]
	s_mov_b32 s32, 0
	v_cmp_gt_i64_e32 vcc, s[26:27], v[19:20]
	s_and_saveexec_b64 s[10:11], vcc
	s_cbranch_execz .LBB41_7
; %bb.1:
	s_load_dword s6, s[8:9], 0x0
	s_load_dwordx8 s[36:43], s[4:5], 0x8
	s_load_dwordx2 s[34:35], s[4:5], 0x28
	s_load_dwordx4 s[28:31], s[4:5], 0x30
	v_not_b32_e32 v1, v19
	v_not_b32_e32 v0, v20
	s_waitcnt lgkmcnt(0)
	v_mov_b32_e32 v2, s43
	v_add_co_u32_e32 v21, vcc, s42, v1
	v_addc_co_u32_e32 v22, vcc, v0, v2, vcc
	v_lshlrev_b64 v[0:1], 3, v[19:20]
	v_mov_b32_e32 v2, s31
	v_add_co_u32_e32 v0, vcc, s30, v0
	v_addc_co_u32_e32 v1, vcc, v2, v1, vcc
	s_mul_hi_u32 s45, s7, s6
	s_mul_i32 s44, s7, s6
	v_add_co_u32_e32 v23, vcc, 4, v0
	v_addc_co_u32_e32 v24, vcc, 0, v1, vcc
	s_lshl_b64 s[42:43], s[44:45], 3
	s_mov_b64 s[46:47], 0
	s_branch .LBB41_3
.LBB41_2:                               ;   in Loop: Header=BB41_3 Depth=1
	s_or_b64 exec, exec, s[48:49]
	global_store_dwordx2 v[23:24], v[0:1], off offset:-4
	v_mov_b32_e32 v0, s45
	v_add_co_u32_e32 v19, vcc, s44, v19
	v_addc_co_u32_e32 v20, vcc, v20, v0, vcc
	v_subrev_co_u32_e32 v21, vcc, s44, v21
	v_subb_co_u32_e32 v22, vcc, v22, v0, vcc
	v_cmp_le_i64_e32 vcc, s[26:27], v[19:20]
	v_mov_b32_e32 v0, s43
	s_or_b64 s[46:47], vcc, s[46:47]
	v_add_co_u32_e32 v23, vcc, s42, v23
	v_addc_co_u32_e32 v24, vcc, v24, v0, vcc
	s_andn2_b64 exec, exec, s[46:47]
	s_cbranch_execz .LBB41_7
.LBB41_3:                               ; =>This Inner Loop Header: Depth=1
	v_cmp_le_i64_e32 vcc, s[28:29], v[19:20]
                                        ; implicit-def: $vgpr0
	s_and_saveexec_b64 s[4:5], vcc
	s_xor_b64 s[48:49], exec, s[4:5]
	s_cbranch_execz .LBB41_5
; %bb.4:                                ;   in Loop: Header=BB41_3 Depth=1
	v_xor_b32_e32 v1, v21, v22
	v_ffbh_i32_e32 v0, v22
	v_ashrrev_i32_e32 v1, 31, v1
	v_add_u32_e32 v0, -1, v0
	v_add_u32_e32 v1, 32, v1
	v_min_u32_e32 v2, v0, v1
	v_lshlrev_b64 v[0:1], v2, v[21:22]
	v_sub_u32_e32 v2, 32, v2
	v_min_u32_e32 v0, 1, v0
	v_or_b32_e32 v0, v1, v0
	v_cvt_f32_i32_e32 v0, v0
	v_mov_b32_e32 v1, s38
	s_getpc_b64 s[4:5]
	s_add_u32 s4, s4, _ZN16c10_complex_math3powIfEEN3c107complexIT_EERKS4_S6_@rel32@lo+4
	s_addc_u32 s5, s5, _ZN16c10_complex_math3powIfEEN3c107complexIT_EERKS4_S6_@rel32@hi+12
	v_ldexp_f32 v0, v0, v2
	v_fma_f32 v2, -s34, v0, v1
	v_mov_b32_e32 v1, s39
	v_fma_f32 v3, -s35, v0, v1
	v_mov_b32_e32 v0, s40
	v_mov_b32_e32 v1, s41
	s_swappc_b64 s[30:31], s[4:5]
.LBB41_5:                               ;   in Loop: Header=BB41_3 Depth=1
	s_andn2_saveexec_b64 s[48:49], s[48:49]
	s_cbranch_execz .LBB41_2
; %bb.6:                                ;   in Loop: Header=BB41_3 Depth=1
	v_ffbh_u32_e32 v0, v20
	v_min_u32_e32 v2, 32, v0
	v_lshlrev_b64 v[0:1], v2, v[19:20]
	v_sub_u32_e32 v2, 32, v2
	v_min_u32_e32 v0, 1, v0
	v_or_b32_e32 v0, v1, v0
	v_cvt_f32_u32_e32 v0, v0
	v_mov_b32_e32 v1, s36
	v_mov_b32_e32 v3, s37
	s_getpc_b64 s[4:5]
	s_add_u32 s4, s4, _ZN16c10_complex_math3powIfEEN3c107complexIT_EERKS4_S6_@rel32@lo+4
	s_addc_u32 s5, s5, _ZN16c10_complex_math3powIfEEN3c107complexIT_EERKS4_S6_@rel32@hi+12
	v_ldexp_f32 v0, v0, v2
	v_fma_f32 v2, s34, v0, v1
	v_fma_f32 v3, s35, v0, v3
	v_mov_b32_e32 v0, s40
	v_mov_b32_e32 v1, s41
	s_swappc_b64 s[30:31], s[4:5]
	s_branch .LBB41_2
.LBB41_7:
	s_endpgm
	.section	.rodata,"a",@progbits
	.p2align	6, 0x0
	.amdhsa_kernel _ZN12_GLOBAL__N_141elementwise_kernel_with_index_grid_strideIlZZZN2at6native17logspace_cuda_outERKN3c106ScalarES6_ldRNS1_6TensorEENKUlvE0_clEvENKUlvE2_clEvEUllE_EEvT_T0_PN15function_traitsISD_E11result_typeE
		.amdhsa_group_segment_fixed_size 0
		.amdhsa_private_segment_fixed_size 0
		.amdhsa_kernarg_size 320
		.amdhsa_user_sgpr_count 6
		.amdhsa_user_sgpr_private_segment_buffer 1
		.amdhsa_user_sgpr_dispatch_ptr 0
		.amdhsa_user_sgpr_queue_ptr 0
		.amdhsa_user_sgpr_kernarg_segment_ptr 1
		.amdhsa_user_sgpr_dispatch_id 0
		.amdhsa_user_sgpr_flat_scratch_init 0
		.amdhsa_user_sgpr_private_segment_size 0
		.amdhsa_uses_dynamic_stack 0
		.amdhsa_system_sgpr_private_segment_wavefront_offset 0
		.amdhsa_system_sgpr_workgroup_id_x 1
		.amdhsa_system_sgpr_workgroup_id_y 0
		.amdhsa_system_sgpr_workgroup_id_z 0
		.amdhsa_system_sgpr_workgroup_info 0
		.amdhsa_system_vgpr_workitem_id 0
		.amdhsa_next_free_vgpr 25
		.amdhsa_next_free_sgpr 50
		.amdhsa_reserve_vcc 1
		.amdhsa_reserve_flat_scratch 0
		.amdhsa_float_round_mode_32 0
		.amdhsa_float_round_mode_16_64 0
		.amdhsa_float_denorm_mode_32 3
		.amdhsa_float_denorm_mode_16_64 3
		.amdhsa_dx10_clamp 1
		.amdhsa_ieee_mode 1
		.amdhsa_fp16_overflow 0
		.amdhsa_exception_fp_ieee_invalid_op 0
		.amdhsa_exception_fp_denorm_src 0
		.amdhsa_exception_fp_ieee_div_zero 0
		.amdhsa_exception_fp_ieee_overflow 0
		.amdhsa_exception_fp_ieee_underflow 0
		.amdhsa_exception_fp_ieee_inexact 0
		.amdhsa_exception_int_div_zero 0
	.end_amdhsa_kernel
	.section	.text._ZN12_GLOBAL__N_141elementwise_kernel_with_index_grid_strideIlZZZN2at6native17logspace_cuda_outERKN3c106ScalarES6_ldRNS1_6TensorEENKUlvE0_clEvENKUlvE2_clEvEUllE_EEvT_T0_PN15function_traitsISD_E11result_typeE,"axG",@progbits,_ZN12_GLOBAL__N_141elementwise_kernel_with_index_grid_strideIlZZZN2at6native17logspace_cuda_outERKN3c106ScalarES6_ldRNS1_6TensorEENKUlvE0_clEvENKUlvE2_clEvEUllE_EEvT_T0_PN15function_traitsISD_E11result_typeE,comdat
.Lfunc_end41:
	.size	_ZN12_GLOBAL__N_141elementwise_kernel_with_index_grid_strideIlZZZN2at6native17logspace_cuda_outERKN3c106ScalarES6_ldRNS1_6TensorEENKUlvE0_clEvENKUlvE2_clEvEUllE_EEvT_T0_PN15function_traitsISD_E11result_typeE, .Lfunc_end41-_ZN12_GLOBAL__N_141elementwise_kernel_with_index_grid_strideIlZZZN2at6native17logspace_cuda_outERKN3c106ScalarES6_ldRNS1_6TensorEENKUlvE0_clEvENKUlvE2_clEvEUllE_EEvT_T0_PN15function_traitsISD_E11result_typeE
                                        ; -- End function
	.set _ZN12_GLOBAL__N_141elementwise_kernel_with_index_grid_strideIlZZZN2at6native17logspace_cuda_outERKN3c106ScalarES6_ldRNS1_6TensorEENKUlvE0_clEvENKUlvE2_clEvEUllE_EEvT_T0_PN15function_traitsISD_E11result_typeE.num_vgpr, max(25, .L_ZN16c10_complex_math3powIfEEN3c107complexIT_EERKS4_S6_.num_vgpr)
	.set _ZN12_GLOBAL__N_141elementwise_kernel_with_index_grid_strideIlZZZN2at6native17logspace_cuda_outERKN3c106ScalarES6_ldRNS1_6TensorEENKUlvE0_clEvENKUlvE2_clEvEUllE_EEvT_T0_PN15function_traitsISD_E11result_typeE.num_agpr, max(0, .L_ZN16c10_complex_math3powIfEEN3c107complexIT_EERKS4_S6_.num_agpr)
	.set _ZN12_GLOBAL__N_141elementwise_kernel_with_index_grid_strideIlZZZN2at6native17logspace_cuda_outERKN3c106ScalarES6_ldRNS1_6TensorEENKUlvE0_clEvENKUlvE2_clEvEUllE_EEvT_T0_PN15function_traitsISD_E11result_typeE.numbered_sgpr, max(50, .L_ZN16c10_complex_math3powIfEEN3c107complexIT_EERKS4_S6_.numbered_sgpr)
	.set _ZN12_GLOBAL__N_141elementwise_kernel_with_index_grid_strideIlZZZN2at6native17logspace_cuda_outERKN3c106ScalarES6_ldRNS1_6TensorEENKUlvE0_clEvENKUlvE2_clEvEUllE_EEvT_T0_PN15function_traitsISD_E11result_typeE.num_named_barrier, max(0, .L_ZN16c10_complex_math3powIfEEN3c107complexIT_EERKS4_S6_.num_named_barrier)
	.set _ZN12_GLOBAL__N_141elementwise_kernel_with_index_grid_strideIlZZZN2at6native17logspace_cuda_outERKN3c106ScalarES6_ldRNS1_6TensorEENKUlvE0_clEvENKUlvE2_clEvEUllE_EEvT_T0_PN15function_traitsISD_E11result_typeE.private_seg_size, 0+max(.L_ZN16c10_complex_math3powIfEEN3c107complexIT_EERKS4_S6_.private_seg_size)
	.set _ZN12_GLOBAL__N_141elementwise_kernel_with_index_grid_strideIlZZZN2at6native17logspace_cuda_outERKN3c106ScalarES6_ldRNS1_6TensorEENKUlvE0_clEvENKUlvE2_clEvEUllE_EEvT_T0_PN15function_traitsISD_E11result_typeE.uses_vcc, or(1, .L_ZN16c10_complex_math3powIfEEN3c107complexIT_EERKS4_S6_.uses_vcc)
	.set _ZN12_GLOBAL__N_141elementwise_kernel_with_index_grid_strideIlZZZN2at6native17logspace_cuda_outERKN3c106ScalarES6_ldRNS1_6TensorEENKUlvE0_clEvENKUlvE2_clEvEUllE_EEvT_T0_PN15function_traitsISD_E11result_typeE.uses_flat_scratch, or(0, .L_ZN16c10_complex_math3powIfEEN3c107complexIT_EERKS4_S6_.uses_flat_scratch)
	.set _ZN12_GLOBAL__N_141elementwise_kernel_with_index_grid_strideIlZZZN2at6native17logspace_cuda_outERKN3c106ScalarES6_ldRNS1_6TensorEENKUlvE0_clEvENKUlvE2_clEvEUllE_EEvT_T0_PN15function_traitsISD_E11result_typeE.has_dyn_sized_stack, or(0, .L_ZN16c10_complex_math3powIfEEN3c107complexIT_EERKS4_S6_.has_dyn_sized_stack)
	.set _ZN12_GLOBAL__N_141elementwise_kernel_with_index_grid_strideIlZZZN2at6native17logspace_cuda_outERKN3c106ScalarES6_ldRNS1_6TensorEENKUlvE0_clEvENKUlvE2_clEvEUllE_EEvT_T0_PN15function_traitsISD_E11result_typeE.has_recursion, or(0, .L_ZN16c10_complex_math3powIfEEN3c107complexIT_EERKS4_S6_.has_recursion)
	.set _ZN12_GLOBAL__N_141elementwise_kernel_with_index_grid_strideIlZZZN2at6native17logspace_cuda_outERKN3c106ScalarES6_ldRNS1_6TensorEENKUlvE0_clEvENKUlvE2_clEvEUllE_EEvT_T0_PN15function_traitsISD_E11result_typeE.has_indirect_call, or(0, .L_ZN16c10_complex_math3powIfEEN3c107complexIT_EERKS4_S6_.has_indirect_call)
	.section	.AMDGPU.csdata,"",@progbits
; Kernel info:
; codeLenInByte = 480
; TotalNumSgprs: 54
; NumVgprs: 25
; ScratchSize: 0
; MemoryBound: 0
; FloatMode: 240
; IeeeMode: 1
; LDSByteSize: 0 bytes/workgroup (compile time only)
; SGPRBlocks: 6
; VGPRBlocks: 6
; NumSGPRsForWavesPerEU: 54
; NumVGPRsForWavesPerEU: 25
; Occupancy: 9
; WaveLimiterHint : 0
; COMPUTE_PGM_RSRC2:SCRATCH_EN: 0
; COMPUTE_PGM_RSRC2:USER_SGPR: 6
; COMPUTE_PGM_RSRC2:TRAP_HANDLER: 0
; COMPUTE_PGM_RSRC2:TGID_X_EN: 1
; COMPUTE_PGM_RSRC2:TGID_Y_EN: 0
; COMPUTE_PGM_RSRC2:TGID_Z_EN: 0
; COMPUTE_PGM_RSRC2:TIDIG_COMP_CNT: 0
	.section	.text._ZN12_GLOBAL__N_141elementwise_kernel_with_index_grid_strideIiZZZN2at6native17logspace_cuda_outERKN3c106ScalarES6_ldRNS1_6TensorEENKUlvE0_clEvENKUlvE3_clEvEUllE_EEvT_T0_PN15function_traitsISD_E11result_typeE,"axG",@progbits,_ZN12_GLOBAL__N_141elementwise_kernel_with_index_grid_strideIiZZZN2at6native17logspace_cuda_outERKN3c106ScalarES6_ldRNS1_6TensorEENKUlvE0_clEvENKUlvE3_clEvEUllE_EEvT_T0_PN15function_traitsISD_E11result_typeE,comdat
	.globl	_ZN12_GLOBAL__N_141elementwise_kernel_with_index_grid_strideIiZZZN2at6native17logspace_cuda_outERKN3c106ScalarES6_ldRNS1_6TensorEENKUlvE0_clEvENKUlvE3_clEvEUllE_EEvT_T0_PN15function_traitsISD_E11result_typeE ; -- Begin function _ZN12_GLOBAL__N_141elementwise_kernel_with_index_grid_strideIiZZZN2at6native17logspace_cuda_outERKN3c106ScalarES6_ldRNS1_6TensorEENKUlvE0_clEvENKUlvE3_clEvEUllE_EEvT_T0_PN15function_traitsISD_E11result_typeE
	.p2align	8
	.type	_ZN12_GLOBAL__N_141elementwise_kernel_with_index_grid_strideIiZZZN2at6native17logspace_cuda_outERKN3c106ScalarES6_ldRNS1_6TensorEENKUlvE0_clEvENKUlvE3_clEvEUllE_EEvT_T0_PN15function_traitsISD_E11result_typeE,@function
_ZN12_GLOBAL__N_141elementwise_kernel_with_index_grid_strideIiZZZN2at6native17logspace_cuda_outERKN3c106ScalarES6_ldRNS1_6TensorEENKUlvE0_clEvENKUlvE3_clEvEUllE_EEvT_T0_PN15function_traitsISD_E11result_typeE: ; @_ZN12_GLOBAL__N_141elementwise_kernel_with_index_grid_strideIiZZZN2at6native17logspace_cuda_outERKN3c106ScalarES6_ldRNS1_6TensorEENKUlvE0_clEvENKUlvE3_clEvEUllE_EEvT_T0_PN15function_traitsISD_E11result_typeE
; %bb.0:
	s_load_dword s2, s[4:5], 0x3c
	s_load_dword s16, s[4:5], 0x0
	s_add_u32 s0, s4, 48
	s_addc_u32 s1, s5, 0
	s_waitcnt lgkmcnt(0)
	s_and_b32 s2, s2, 0xffff
	s_mul_i32 s6, s6, s2
	v_add_u32_e32 v0, s6, v0
	v_cmp_gt_i32_e32 vcc, s16, v0
	s_and_saveexec_b64 s[6:7], vcc
	s_cbranch_execz .LBB42_7
; %bb.1:
	s_load_dwordx4 s[8:11], s[4:5], 0x8
	s_load_dword s3, s[0:1], 0x0
	s_load_dword s17, s[4:5], 0x18
	s_load_dwordx4 s[12:15], s[4:5], 0x20
	v_ashrrev_i32_e32 v1, 31, v0
	v_not_b32_e32 v2, v0
	v_not_b32_e32 v3, v1
	s_waitcnt lgkmcnt(0)
	v_mov_b32_e32 v4, s11
	v_add_co_u32_e32 v2, vcc, s10, v2
	v_cvt_f32_f16_e32 v6, s9
	v_addc_co_u32_e32 v3, vcc, v3, v4, vcc
	v_lshlrev_b64 v[4:5], 1, v[0:1]
	s_mul_i32 s4, s3, s2
	s_ashr_i32 s5, s4, 31
	v_mov_b32_e32 v7, s15
	v_add_co_u32_e32 v4, vcc, s14, v4
	s_lshr_b32 s18, s8, 16
	v_cmp_eq_f16_e64 s[6:7], s9, 1.0
	v_addc_co_u32_e32 v5, vcc, v7, v5, vcc
	s_lshl_b64 s[10:11], s[4:5], 1
	s_mov_b64 s[14:15], 0
	s_mov_b32 s9, 0x3f2aaaab
	v_mov_b32_e32 v7, 0x3ecccdef
	s_mov_b32 s19, 0x3f317218
	s_movk_i32 s20, 0x204
	s_mov_b32 s21, 0x7f800000
	s_mov_b32 s22, 0x42b17218
	;; [unrolled: 1-line block ×4, first 2 shown]
	s_brev_b32 s25, -2
	v_mov_b32_e32 v8, 0x37000000
	v_mov_b32_e32 v9, 0x7f800000
	;; [unrolled: 1-line block ×3, first 2 shown]
	s_branch .LBB42_3
.LBB42_2:                               ;   in Loop: Header=BB42_3 Depth=1
	s_or_b64 exec, exec, s[0:1]
	v_cvt_f32_f16_e32 v11, v11
	v_cndmask_b32_e64 v13, v11, 1.0, s[6:7]
	v_cmp_neq_f32_e32 vcc, 0, v13
	v_cndmask_b32_e32 v14, 1.0, v6, vcc
	v_frexp_mant_f32_e64 v11, |v14|
	v_cmp_gt_f32_e32 vcc, s9, v11
	v_cndmask_b32_e64 v12, 1.0, 2.0, vcc
	v_mul_f32_e32 v11, v11, v12
	v_add_f32_e32 v12, 1.0, v11
	v_rcp_f32_e32 v15, v12
	v_add_f32_e32 v16, -1.0, v11
	v_add_f32_e32 v17, -1.0, v12
	v_sub_f32_e32 v11, v11, v17
	v_mul_f32_e32 v17, v16, v15
	v_mul_f32_e32 v18, v12, v17
	v_fma_f32 v12, v17, v12, -v18
	v_fmac_f32_e32 v12, v17, v11
	v_add_f32_e32 v11, v18, v12
	v_sub_f32_e32 v19, v16, v11
	v_sub_f32_e32 v18, v11, v18
	;; [unrolled: 1-line block ×5, first 2 shown]
	v_add_f32_e32 v11, v12, v11
	v_add_f32_e32 v11, v19, v11
	v_mul_f32_e32 v11, v15, v11
	v_add_f32_e32 v15, v17, v11
	v_sub_f32_e32 v12, v15, v17
	v_sub_f32_e32 v16, v11, v12
	v_mul_f32_e32 v11, v15, v15
	v_fma_f32 v12, v15, v15, -v11
	v_add_f32_e32 v17, v16, v16
	v_fmac_f32_e32 v12, v15, v17
	v_add_f32_e32 v17, v11, v12
	v_mov_b32_e32 v18, 0x3e91f4c4
	v_fmac_f32_e32 v18, 0x3e76c4e1, v17
	v_fma_f32 v18, v17, v18, v7
	v_sub_f32_e32 v11, v17, v11
	v_mul_f32_e32 v19, v15, v17
	v_sub_f32_e32 v11, v12, v11
	v_fma_f32 v20, v17, v15, -v19
	v_mul_f32_e32 v12, v17, v18
	v_fmac_f32_e32 v20, v17, v16
	v_fma_f32 v17, v17, v18, -v12
	v_fmac_f32_e32 v17, v11, v18
	v_fmac_f32_e32 v20, v11, v15
	v_add_f32_e32 v11, v12, v17
	v_sub_f32_e32 v12, v11, v12
	v_sub_f32_e32 v12, v17, v12
	v_add_f32_e32 v17, 0x3f2aaaaa, v11
	v_add_f32_e32 v18, 0xbf2aaaaa, v17
	v_sub_f32_e32 v11, v11, v18
	v_add_f32_e32 v12, 0x31739010, v12
	v_add_f32_e32 v11, v12, v11
	;; [unrolled: 1-line block ×3, first 2 shown]
	v_sub_f32_e32 v12, v17, v18
	v_add_f32_e32 v17, v11, v12
	v_cvt_f64_f32_e64 v[11:12], |v14|
	v_ldexp_f32 v15, v15, 1
	v_cmp_neq_f32_e64 s[2:3], v13, |v13|
	v_cmp_lt_f32_e64 s[26:27], |v14|, 1.0
	v_frexp_exp_i32_f64_e32 v11, v[11:12]
	v_add_f32_e32 v12, v19, v20
	v_mul_f32_e32 v21, v12, v18
	v_fma_f32 v22, v12, v18, -v21
	v_fmac_f32_e32 v22, v12, v17
	v_sub_f32_e32 v12, v12, v19
	v_sub_f32_e32 v12, v20, v12
	v_fmac_f32_e32 v22, v12, v18
	v_subbrev_co_u32_e32 v11, vcc, 0, v11, vcc
	v_cvt_f32_i32_e32 v11, v11
	s_xor_b64 s[2:3], s[2:3], s[26:27]
	v_cmp_class_f32_e64 s[26:27], v14, s20
	v_mul_f32_e32 v12, 0x3f317218, v11
	v_fma_f32 v17, v11, s19, -v12
	v_fmac_f32_e32 v17, 0xb102e308, v11
	v_ldexp_f32 v11, v16, 1
	v_add_f32_e32 v16, v12, v17
	v_sub_f32_e32 v12, v16, v12
	v_sub_f32_e32 v12, v17, v12
	v_add_f32_e32 v17, v21, v22
	v_sub_f32_e32 v18, v17, v21
	v_add_f32_e32 v19, v15, v17
	v_sub_f32_e32 v18, v22, v18
	v_sub_f32_e32 v15, v19, v15
	;; [unrolled: 1-line block ×3, first 2 shown]
	v_add_f32_e32 v11, v11, v18
	v_add_f32_e32 v11, v11, v15
	;; [unrolled: 1-line block ×3, first 2 shown]
	v_sub_f32_e32 v17, v15, v19
	v_sub_f32_e32 v11, v11, v17
	v_add_f32_e32 v17, v16, v15
	v_sub_f32_e32 v18, v17, v16
	v_sub_f32_e32 v19, v17, v18
	;; [unrolled: 1-line block ×4, first 2 shown]
	v_add_f32_e32 v15, v15, v16
	v_add_f32_e32 v16, v12, v11
	v_sub_f32_e32 v18, v16, v12
	v_sub_f32_e32 v19, v16, v18
	;; [unrolled: 1-line block ×4, first 2 shown]
	v_add_f32_e32 v11, v11, v12
	v_add_f32_e32 v12, v16, v15
	;; [unrolled: 1-line block ×3, first 2 shown]
	v_sub_f32_e32 v16, v15, v17
	v_sub_f32_e32 v12, v12, v16
	v_add_f32_e32 v11, v11, v12
	v_add_f32_e32 v12, v15, v11
	v_sub_f32_e32 v15, v12, v15
	v_sub_f32_e32 v11, v11, v15
	v_mul_f32_e32 v15, v13, v12
	v_fma_f32 v12, v13, v12, -v15
	v_fmac_f32_e32 v12, v13, v11
	v_add_f32_e32 v11, v15, v12
	v_cmp_class_f32_e64 vcc, v15, s20
	v_sub_f32_e32 v16, v11, v15
	v_cndmask_b32_e32 v11, v11, v15, vcc
	v_cmp_eq_f32_e32 vcc, s22, v11
	v_cndmask_b32_e32 v15, 0, v8, vcc
	v_sub_f32_e32 v12, v12, v16
	v_sub_f32_e32 v16, v11, v15
	v_mul_f32_e32 v17, 0x3fb8aa3b, v16
	v_fma_f32 v18, v16, s23, -v17
	v_rndne_f32_e32 v19, v17
	v_fmac_f32_e32 v18, 0x32a5705f, v16
	v_sub_f32_e32 v17, v17, v19
	v_add_f32_e32 v17, v17, v18
	v_exp_f32_e32 v17, v17
	v_cvt_i32_f32_e32 v18, v19
	v_cmp_neq_f32_e64 vcc, |v11|, s21
	v_cndmask_b32_e32 v11, 0, v12, vcc
	v_cmp_ngt_f32_e32 vcc, s24, v16
	v_ldexp_f32 v12, v17, v18
	v_cndmask_b32_e32 v12, 0, v12, vcc
	v_cmp_nlt_f32_e32 vcc, s22, v16
	v_add_f32_e32 v11, v15, v11
	v_cndmask_b32_e32 v12, v9, v12, vcc
	v_fma_f32 v11, v12, v11, v12
	v_cmp_class_f32_e64 vcc, v12, s20
	v_cndmask_b32_e32 v11, v11, v12, vcc
	v_trunc_f32_e32 v12, v13
	v_cmp_eq_f32_e32 vcc, v12, v13
	v_mul_f32_e32 v12, 0.5, v13
	v_trunc_f32_e32 v15, v12
	v_cmp_neq_f32_e64 s[0:1], v15, v12
	s_and_b64 s[0:1], vcc, s[0:1]
	v_cndmask_b32_e64 v12, 1.0, v14, s[0:1]
	v_bfi_b32 v11, s25, v11, v12
	v_cndmask_b32_e32 v12, v10, v11, vcc
	v_cmp_gt_f32_e32 vcc, 0, v14
	v_cndmask_b32_e32 v11, v11, v12, vcc
	v_cndmask_b32_e64 v12, v9, 0, s[2:3]
	v_cmp_neq_f32_e64 vcc, |v14|, 1.0
	v_cndmask_b32_e32 v12, 1.0, v12, vcc
	v_cmp_class_f32_e64 vcc, v13, s20
	v_cndmask_b32_e32 v11, v11, v12, vcc
	v_cmp_eq_f32_e32 vcc, 0, v14
	v_cmp_gt_f32_e64 s[2:3], 0, v13
	s_xor_b64 s[2:3], s[2:3], vcc
	v_cndmask_b32_e64 v12, v9, 0, s[2:3]
	v_cndmask_b32_e64 v15, 0, v14, s[0:1]
	v_bfi_b32 v12, s25, v12, v15
	s_or_b64 vcc, vcc, s[26:27]
	v_cndmask_b32_e32 v11, v11, v12, vcc
	v_cmp_o_f32_e32 vcc, v14, v13
	v_cndmask_b32_e32 v11, v10, v11, vcc
	v_cvt_f16_f32_e32 v11, v11
	v_add_co_u32_e32 v0, vcc, s4, v0
	global_store_short v[4:5], v11, off
	v_mov_b32_e32 v11, s5
	v_addc_co_u32_e32 v1, vcc, v1, v11, vcc
	v_subrev_co_u32_e32 v2, vcc, s4, v2
	v_subb_co_u32_e32 v3, vcc, v3, v11, vcc
	v_cmp_le_i32_e32 vcc, s16, v0
	v_mov_b32_e32 v11, s11
	s_or_b64 s[14:15], vcc, s[14:15]
	v_add_co_u32_e32 v4, vcc, s10, v4
	v_addc_co_u32_e32 v5, vcc, v5, v11, vcc
	s_andn2_b64 exec, exec, s[14:15]
	s_cbranch_execz .LBB42_7
.LBB42_3:                               ; =>This Inner Loop Header: Depth=1
	v_cmp_le_i64_e32 vcc, s[12:13], v[0:1]
                                        ; implicit-def: $vgpr11
	s_and_saveexec_b64 s[0:1], vcc
	s_xor_b64 s[0:1], exec, s[0:1]
	s_cbranch_execz .LBB42_5
; %bb.4:                                ;   in Loop: Header=BB42_3 Depth=1
	v_xor_b32_e32 v12, v2, v3
	v_ffbh_i32_e32 v11, v3
	v_ashrrev_i32_e32 v12, 31, v12
	v_add_u32_e32 v11, -1, v11
	v_add_u32_e32 v12, 32, v12
	v_min_u32_e32 v13, v11, v12
	v_lshlrev_b64 v[11:12], v13, v[2:3]
	v_min_u32_e32 v11, 1, v11
	v_or_b32_e32 v11, v12, v11
	v_cvt_f32_i32_e32 v11, v11
	v_sub_u32_e32 v12, 32, v13
	v_ldexp_f32 v11, v11, v12
	v_cvt_f16_f32_e32 v11, v11
	v_mov_b32_e32 v12, s18
	v_fma_f16 v11, -s17, v11, v12
.LBB42_5:                               ;   in Loop: Header=BB42_3 Depth=1
	s_andn2_saveexec_b64 s[0:1], s[0:1]
	s_cbranch_execz .LBB42_2
; %bb.6:                                ;   in Loop: Header=BB42_3 Depth=1
	v_cvt_f32_i32_e32 v11, v0
	v_mov_b32_e32 v12, s8
	v_cvt_f16_f32_e32 v11, v11
	v_fma_f16 v11, s17, v11, v12
	s_branch .LBB42_2
.LBB42_7:
	s_endpgm
	.section	.rodata,"a",@progbits
	.p2align	6, 0x0
	.amdhsa_kernel _ZN12_GLOBAL__N_141elementwise_kernel_with_index_grid_strideIiZZZN2at6native17logspace_cuda_outERKN3c106ScalarES6_ldRNS1_6TensorEENKUlvE0_clEvENKUlvE3_clEvEUllE_EEvT_T0_PN15function_traitsISD_E11result_typeE
		.amdhsa_group_segment_fixed_size 0
		.amdhsa_private_segment_fixed_size 0
		.amdhsa_kernarg_size 304
		.amdhsa_user_sgpr_count 6
		.amdhsa_user_sgpr_private_segment_buffer 1
		.amdhsa_user_sgpr_dispatch_ptr 0
		.amdhsa_user_sgpr_queue_ptr 0
		.amdhsa_user_sgpr_kernarg_segment_ptr 1
		.amdhsa_user_sgpr_dispatch_id 0
		.amdhsa_user_sgpr_flat_scratch_init 0
		.amdhsa_user_sgpr_private_segment_size 0
		.amdhsa_uses_dynamic_stack 0
		.amdhsa_system_sgpr_private_segment_wavefront_offset 0
		.amdhsa_system_sgpr_workgroup_id_x 1
		.amdhsa_system_sgpr_workgroup_id_y 0
		.amdhsa_system_sgpr_workgroup_id_z 0
		.amdhsa_system_sgpr_workgroup_info 0
		.amdhsa_system_vgpr_workitem_id 0
		.amdhsa_next_free_vgpr 23
		.amdhsa_next_free_sgpr 28
		.amdhsa_reserve_vcc 1
		.amdhsa_reserve_flat_scratch 0
		.amdhsa_float_round_mode_32 0
		.amdhsa_float_round_mode_16_64 0
		.amdhsa_float_denorm_mode_32 3
		.amdhsa_float_denorm_mode_16_64 3
		.amdhsa_dx10_clamp 1
		.amdhsa_ieee_mode 1
		.amdhsa_fp16_overflow 0
		.amdhsa_exception_fp_ieee_invalid_op 0
		.amdhsa_exception_fp_denorm_src 0
		.amdhsa_exception_fp_ieee_div_zero 0
		.amdhsa_exception_fp_ieee_overflow 0
		.amdhsa_exception_fp_ieee_underflow 0
		.amdhsa_exception_fp_ieee_inexact 0
		.amdhsa_exception_int_div_zero 0
	.end_amdhsa_kernel
	.section	.text._ZN12_GLOBAL__N_141elementwise_kernel_with_index_grid_strideIiZZZN2at6native17logspace_cuda_outERKN3c106ScalarES6_ldRNS1_6TensorEENKUlvE0_clEvENKUlvE3_clEvEUllE_EEvT_T0_PN15function_traitsISD_E11result_typeE,"axG",@progbits,_ZN12_GLOBAL__N_141elementwise_kernel_with_index_grid_strideIiZZZN2at6native17logspace_cuda_outERKN3c106ScalarES6_ldRNS1_6TensorEENKUlvE0_clEvENKUlvE3_clEvEUllE_EEvT_T0_PN15function_traitsISD_E11result_typeE,comdat
.Lfunc_end42:
	.size	_ZN12_GLOBAL__N_141elementwise_kernel_with_index_grid_strideIiZZZN2at6native17logspace_cuda_outERKN3c106ScalarES6_ldRNS1_6TensorEENKUlvE0_clEvENKUlvE3_clEvEUllE_EEvT_T0_PN15function_traitsISD_E11result_typeE, .Lfunc_end42-_ZN12_GLOBAL__N_141elementwise_kernel_with_index_grid_strideIiZZZN2at6native17logspace_cuda_outERKN3c106ScalarES6_ldRNS1_6TensorEENKUlvE0_clEvENKUlvE3_clEvEUllE_EEvT_T0_PN15function_traitsISD_E11result_typeE
                                        ; -- End function
	.set _ZN12_GLOBAL__N_141elementwise_kernel_with_index_grid_strideIiZZZN2at6native17logspace_cuda_outERKN3c106ScalarES6_ldRNS1_6TensorEENKUlvE0_clEvENKUlvE3_clEvEUllE_EEvT_T0_PN15function_traitsISD_E11result_typeE.num_vgpr, 23
	.set _ZN12_GLOBAL__N_141elementwise_kernel_with_index_grid_strideIiZZZN2at6native17logspace_cuda_outERKN3c106ScalarES6_ldRNS1_6TensorEENKUlvE0_clEvENKUlvE3_clEvEUllE_EEvT_T0_PN15function_traitsISD_E11result_typeE.num_agpr, 0
	.set _ZN12_GLOBAL__N_141elementwise_kernel_with_index_grid_strideIiZZZN2at6native17logspace_cuda_outERKN3c106ScalarES6_ldRNS1_6TensorEENKUlvE0_clEvENKUlvE3_clEvEUllE_EEvT_T0_PN15function_traitsISD_E11result_typeE.numbered_sgpr, 28
	.set _ZN12_GLOBAL__N_141elementwise_kernel_with_index_grid_strideIiZZZN2at6native17logspace_cuda_outERKN3c106ScalarES6_ldRNS1_6TensorEENKUlvE0_clEvENKUlvE3_clEvEUllE_EEvT_T0_PN15function_traitsISD_E11result_typeE.num_named_barrier, 0
	.set _ZN12_GLOBAL__N_141elementwise_kernel_with_index_grid_strideIiZZZN2at6native17logspace_cuda_outERKN3c106ScalarES6_ldRNS1_6TensorEENKUlvE0_clEvENKUlvE3_clEvEUllE_EEvT_T0_PN15function_traitsISD_E11result_typeE.private_seg_size, 0
	.set _ZN12_GLOBAL__N_141elementwise_kernel_with_index_grid_strideIiZZZN2at6native17logspace_cuda_outERKN3c106ScalarES6_ldRNS1_6TensorEENKUlvE0_clEvENKUlvE3_clEvEUllE_EEvT_T0_PN15function_traitsISD_E11result_typeE.uses_vcc, 1
	.set _ZN12_GLOBAL__N_141elementwise_kernel_with_index_grid_strideIiZZZN2at6native17logspace_cuda_outERKN3c106ScalarES6_ldRNS1_6TensorEENKUlvE0_clEvENKUlvE3_clEvEUllE_EEvT_T0_PN15function_traitsISD_E11result_typeE.uses_flat_scratch, 0
	.set _ZN12_GLOBAL__N_141elementwise_kernel_with_index_grid_strideIiZZZN2at6native17logspace_cuda_outERKN3c106ScalarES6_ldRNS1_6TensorEENKUlvE0_clEvENKUlvE3_clEvEUllE_EEvT_T0_PN15function_traitsISD_E11result_typeE.has_dyn_sized_stack, 0
	.set _ZN12_GLOBAL__N_141elementwise_kernel_with_index_grid_strideIiZZZN2at6native17logspace_cuda_outERKN3c106ScalarES6_ldRNS1_6TensorEENKUlvE0_clEvENKUlvE3_clEvEUllE_EEvT_T0_PN15function_traitsISD_E11result_typeE.has_recursion, 0
	.set _ZN12_GLOBAL__N_141elementwise_kernel_with_index_grid_strideIiZZZN2at6native17logspace_cuda_outERKN3c106ScalarES6_ldRNS1_6TensorEENKUlvE0_clEvENKUlvE3_clEvEUllE_EEvT_T0_PN15function_traitsISD_E11result_typeE.has_indirect_call, 0
	.section	.AMDGPU.csdata,"",@progbits
; Kernel info:
; codeLenInByte = 1284
; TotalNumSgprs: 32
; NumVgprs: 23
; ScratchSize: 0
; MemoryBound: 0
; FloatMode: 240
; IeeeMode: 1
; LDSByteSize: 0 bytes/workgroup (compile time only)
; SGPRBlocks: 3
; VGPRBlocks: 5
; NumSGPRsForWavesPerEU: 32
; NumVGPRsForWavesPerEU: 23
; Occupancy: 10
; WaveLimiterHint : 0
; COMPUTE_PGM_RSRC2:SCRATCH_EN: 0
; COMPUTE_PGM_RSRC2:USER_SGPR: 6
; COMPUTE_PGM_RSRC2:TRAP_HANDLER: 0
; COMPUTE_PGM_RSRC2:TGID_X_EN: 1
; COMPUTE_PGM_RSRC2:TGID_Y_EN: 0
; COMPUTE_PGM_RSRC2:TGID_Z_EN: 0
; COMPUTE_PGM_RSRC2:TIDIG_COMP_CNT: 0
	.section	.text._ZN12_GLOBAL__N_141elementwise_kernel_with_index_grid_strideIlZZZN2at6native17logspace_cuda_outERKN3c106ScalarES6_ldRNS1_6TensorEENKUlvE0_clEvENKUlvE3_clEvEUllE_EEvT_T0_PN15function_traitsISD_E11result_typeE,"axG",@progbits,_ZN12_GLOBAL__N_141elementwise_kernel_with_index_grid_strideIlZZZN2at6native17logspace_cuda_outERKN3c106ScalarES6_ldRNS1_6TensorEENKUlvE0_clEvENKUlvE3_clEvEUllE_EEvT_T0_PN15function_traitsISD_E11result_typeE,comdat
	.globl	_ZN12_GLOBAL__N_141elementwise_kernel_with_index_grid_strideIlZZZN2at6native17logspace_cuda_outERKN3c106ScalarES6_ldRNS1_6TensorEENKUlvE0_clEvENKUlvE3_clEvEUllE_EEvT_T0_PN15function_traitsISD_E11result_typeE ; -- Begin function _ZN12_GLOBAL__N_141elementwise_kernel_with_index_grid_strideIlZZZN2at6native17logspace_cuda_outERKN3c106ScalarES6_ldRNS1_6TensorEENKUlvE0_clEvENKUlvE3_clEvEUllE_EEvT_T0_PN15function_traitsISD_E11result_typeE
	.p2align	8
	.type	_ZN12_GLOBAL__N_141elementwise_kernel_with_index_grid_strideIlZZZN2at6native17logspace_cuda_outERKN3c106ScalarES6_ldRNS1_6TensorEENKUlvE0_clEvENKUlvE3_clEvEUllE_EEvT_T0_PN15function_traitsISD_E11result_typeE,@function
_ZN12_GLOBAL__N_141elementwise_kernel_with_index_grid_strideIlZZZN2at6native17logspace_cuda_outERKN3c106ScalarES6_ldRNS1_6TensorEENKUlvE0_clEvENKUlvE3_clEvEUllE_EEvT_T0_PN15function_traitsISD_E11result_typeE: ; @_ZN12_GLOBAL__N_141elementwise_kernel_with_index_grid_strideIlZZZN2at6native17logspace_cuda_outERKN3c106ScalarES6_ldRNS1_6TensorEENKUlvE0_clEvENKUlvE3_clEvEUllE_EEvT_T0_PN15function_traitsISD_E11result_typeE
; %bb.0:
	s_load_dword s2, s[4:5], 0x3c
	s_load_dwordx2 s[16:17], s[4:5], 0x0
	s_add_u32 s0, s4, 48
	s_addc_u32 s1, s5, 0
	v_mov_b32_e32 v1, 0
	s_waitcnt lgkmcnt(0)
	s_and_b32 s2, s2, 0xffff
	v_mov_b32_e32 v2, s6
	v_mad_u64_u32 v[0:1], s[6:7], s2, v2, v[0:1]
	v_cmp_gt_i64_e32 vcc, s[16:17], v[0:1]
	s_and_saveexec_b64 s[6:7], vcc
	s_cbranch_execz .LBB43_7
; %bb.1:
	s_load_dwordx4 s[8:11], s[4:5], 0x8
	s_load_dword s3, s[0:1], 0x0
	s_load_dword s18, s[4:5], 0x18
	s_load_dwordx4 s[12:15], s[4:5], 0x20
	v_not_b32_e32 v2, v0
	v_not_b32_e32 v3, v1
	s_waitcnt lgkmcnt(0)
	v_mov_b32_e32 v4, s11
	v_add_co_u32_e32 v2, vcc, s10, v2
	v_cvt_f32_f16_e32 v6, s9
	v_addc_co_u32_e32 v3, vcc, v3, v4, vcc
	v_lshlrev_b64 v[4:5], 1, v[0:1]
	s_mul_hi_u32 s5, s2, s3
	s_mul_i32 s4, s2, s3
	v_mov_b32_e32 v7, s15
	v_add_co_u32_e32 v4, vcc, s14, v4
	s_lshr_b32 s19, s8, 16
	v_cmp_eq_f16_e64 s[6:7], s9, 1.0
	v_addc_co_u32_e32 v5, vcc, v7, v5, vcc
	s_lshl_b64 s[10:11], s[4:5], 1
	s_mov_b64 s[14:15], 0
	s_mov_b32 s9, 0x3f2aaaab
	v_mov_b32_e32 v7, 0x3ecccdef
	s_mov_b32 s20, 0x3f317218
	s_movk_i32 s21, 0x204
	s_mov_b32 s22, 0x7f800000
	s_mov_b32 s23, 0x42b17218
	s_mov_b32 s24, 0x3fb8aa3b
	s_mov_b32 s25, 0xc2ce8ed0
	s_brev_b32 s26, -2
	v_mov_b32_e32 v8, 0x37000000
	v_mov_b32_e32 v9, 0x7f800000
	;; [unrolled: 1-line block ×3, first 2 shown]
	s_branch .LBB43_3
.LBB43_2:                               ;   in Loop: Header=BB43_3 Depth=1
	s_or_b64 exec, exec, s[0:1]
	v_cvt_f32_f16_e32 v11, v11
	v_cndmask_b32_e64 v13, v11, 1.0, s[6:7]
	v_cmp_neq_f32_e32 vcc, 0, v13
	v_cndmask_b32_e32 v14, 1.0, v6, vcc
	v_frexp_mant_f32_e64 v11, |v14|
	v_cmp_gt_f32_e32 vcc, s9, v11
	v_cndmask_b32_e64 v12, 1.0, 2.0, vcc
	v_mul_f32_e32 v11, v11, v12
	v_add_f32_e32 v12, 1.0, v11
	v_rcp_f32_e32 v15, v12
	v_add_f32_e32 v16, -1.0, v11
	v_add_f32_e32 v17, -1.0, v12
	v_sub_f32_e32 v11, v11, v17
	v_mul_f32_e32 v17, v16, v15
	v_mul_f32_e32 v18, v12, v17
	v_fma_f32 v12, v17, v12, -v18
	v_fmac_f32_e32 v12, v17, v11
	v_add_f32_e32 v11, v18, v12
	v_sub_f32_e32 v19, v16, v11
	v_sub_f32_e32 v18, v11, v18
	;; [unrolled: 1-line block ×5, first 2 shown]
	v_add_f32_e32 v11, v12, v11
	v_add_f32_e32 v11, v19, v11
	v_mul_f32_e32 v11, v15, v11
	v_add_f32_e32 v15, v17, v11
	v_sub_f32_e32 v12, v15, v17
	v_sub_f32_e32 v16, v11, v12
	v_mul_f32_e32 v11, v15, v15
	v_fma_f32 v12, v15, v15, -v11
	v_add_f32_e32 v17, v16, v16
	v_fmac_f32_e32 v12, v15, v17
	v_add_f32_e32 v17, v11, v12
	v_mov_b32_e32 v18, 0x3e91f4c4
	v_fmac_f32_e32 v18, 0x3e76c4e1, v17
	v_fma_f32 v18, v17, v18, v7
	v_sub_f32_e32 v11, v17, v11
	v_mul_f32_e32 v19, v15, v17
	v_sub_f32_e32 v11, v12, v11
	v_fma_f32 v20, v17, v15, -v19
	v_mul_f32_e32 v12, v17, v18
	v_fmac_f32_e32 v20, v17, v16
	v_fma_f32 v17, v17, v18, -v12
	v_fmac_f32_e32 v17, v11, v18
	v_fmac_f32_e32 v20, v11, v15
	v_add_f32_e32 v11, v12, v17
	v_sub_f32_e32 v12, v11, v12
	v_sub_f32_e32 v12, v17, v12
	v_add_f32_e32 v17, 0x3f2aaaaa, v11
	v_add_f32_e32 v18, 0xbf2aaaaa, v17
	v_sub_f32_e32 v11, v11, v18
	v_add_f32_e32 v12, 0x31739010, v12
	v_add_f32_e32 v11, v12, v11
	;; [unrolled: 1-line block ×3, first 2 shown]
	v_sub_f32_e32 v12, v17, v18
	v_add_f32_e32 v17, v11, v12
	v_cvt_f64_f32_e64 v[11:12], |v14|
	v_ldexp_f32 v15, v15, 1
	v_cmp_neq_f32_e64 s[2:3], v13, |v13|
	v_cmp_lt_f32_e64 s[28:29], |v14|, 1.0
	v_frexp_exp_i32_f64_e32 v11, v[11:12]
	v_add_f32_e32 v12, v19, v20
	v_mul_f32_e32 v21, v12, v18
	v_fma_f32 v22, v12, v18, -v21
	v_fmac_f32_e32 v22, v12, v17
	v_sub_f32_e32 v12, v12, v19
	v_sub_f32_e32 v12, v20, v12
	v_fmac_f32_e32 v22, v12, v18
	v_subbrev_co_u32_e32 v11, vcc, 0, v11, vcc
	v_cvt_f32_i32_e32 v11, v11
	s_xor_b64 s[2:3], s[2:3], s[28:29]
	v_cmp_class_f32_e64 s[28:29], v14, s21
	v_mul_f32_e32 v12, 0x3f317218, v11
	v_fma_f32 v17, v11, s20, -v12
	v_fmac_f32_e32 v17, 0xb102e308, v11
	v_ldexp_f32 v11, v16, 1
	v_add_f32_e32 v16, v12, v17
	v_sub_f32_e32 v12, v16, v12
	v_sub_f32_e32 v12, v17, v12
	v_add_f32_e32 v17, v21, v22
	v_sub_f32_e32 v18, v17, v21
	v_add_f32_e32 v19, v15, v17
	v_sub_f32_e32 v18, v22, v18
	v_sub_f32_e32 v15, v19, v15
	;; [unrolled: 1-line block ×3, first 2 shown]
	v_add_f32_e32 v11, v11, v18
	v_add_f32_e32 v11, v11, v15
	;; [unrolled: 1-line block ×3, first 2 shown]
	v_sub_f32_e32 v17, v15, v19
	v_sub_f32_e32 v11, v11, v17
	v_add_f32_e32 v17, v16, v15
	v_sub_f32_e32 v18, v17, v16
	v_sub_f32_e32 v19, v17, v18
	;; [unrolled: 1-line block ×4, first 2 shown]
	v_add_f32_e32 v15, v15, v16
	v_add_f32_e32 v16, v12, v11
	v_sub_f32_e32 v18, v16, v12
	v_sub_f32_e32 v19, v16, v18
	;; [unrolled: 1-line block ×4, first 2 shown]
	v_add_f32_e32 v11, v11, v12
	v_add_f32_e32 v12, v16, v15
	;; [unrolled: 1-line block ×3, first 2 shown]
	v_sub_f32_e32 v16, v15, v17
	v_sub_f32_e32 v12, v12, v16
	v_add_f32_e32 v11, v11, v12
	v_add_f32_e32 v12, v15, v11
	v_sub_f32_e32 v15, v12, v15
	v_sub_f32_e32 v11, v11, v15
	v_mul_f32_e32 v15, v13, v12
	v_fma_f32 v12, v13, v12, -v15
	v_fmac_f32_e32 v12, v13, v11
	v_add_f32_e32 v11, v15, v12
	v_cmp_class_f32_e64 vcc, v15, s21
	v_sub_f32_e32 v16, v11, v15
	v_cndmask_b32_e32 v11, v11, v15, vcc
	v_cmp_eq_f32_e32 vcc, s23, v11
	v_cndmask_b32_e32 v15, 0, v8, vcc
	v_sub_f32_e32 v12, v12, v16
	v_sub_f32_e32 v16, v11, v15
	v_mul_f32_e32 v17, 0x3fb8aa3b, v16
	v_fma_f32 v18, v16, s24, -v17
	v_rndne_f32_e32 v19, v17
	v_fmac_f32_e32 v18, 0x32a5705f, v16
	v_sub_f32_e32 v17, v17, v19
	v_add_f32_e32 v17, v17, v18
	v_exp_f32_e32 v17, v17
	v_cvt_i32_f32_e32 v18, v19
	v_cmp_neq_f32_e64 vcc, |v11|, s22
	v_cndmask_b32_e32 v11, 0, v12, vcc
	v_cmp_ngt_f32_e32 vcc, s25, v16
	v_ldexp_f32 v12, v17, v18
	v_cndmask_b32_e32 v12, 0, v12, vcc
	v_cmp_nlt_f32_e32 vcc, s23, v16
	v_add_f32_e32 v11, v15, v11
	v_cndmask_b32_e32 v12, v9, v12, vcc
	v_fma_f32 v11, v12, v11, v12
	v_cmp_class_f32_e64 vcc, v12, s21
	v_cndmask_b32_e32 v11, v11, v12, vcc
	v_trunc_f32_e32 v12, v13
	v_cmp_eq_f32_e32 vcc, v12, v13
	v_mul_f32_e32 v12, 0.5, v13
	v_trunc_f32_e32 v15, v12
	v_cmp_neq_f32_e64 s[0:1], v15, v12
	s_and_b64 s[0:1], vcc, s[0:1]
	v_cndmask_b32_e64 v12, 1.0, v14, s[0:1]
	v_bfi_b32 v11, s26, v11, v12
	v_cndmask_b32_e32 v12, v10, v11, vcc
	v_cmp_gt_f32_e32 vcc, 0, v14
	v_cndmask_b32_e32 v11, v11, v12, vcc
	v_cndmask_b32_e64 v12, v9, 0, s[2:3]
	v_cmp_neq_f32_e64 vcc, |v14|, 1.0
	v_cndmask_b32_e32 v12, 1.0, v12, vcc
	v_cmp_class_f32_e64 vcc, v13, s21
	v_cndmask_b32_e32 v11, v11, v12, vcc
	v_cmp_eq_f32_e32 vcc, 0, v14
	v_cmp_gt_f32_e64 s[2:3], 0, v13
	s_xor_b64 s[2:3], s[2:3], vcc
	v_cndmask_b32_e64 v12, v9, 0, s[2:3]
	v_cndmask_b32_e64 v15, 0, v14, s[0:1]
	v_bfi_b32 v12, s26, v12, v15
	s_or_b64 vcc, vcc, s[28:29]
	v_cndmask_b32_e32 v11, v11, v12, vcc
	v_cmp_o_f32_e32 vcc, v14, v13
	v_cndmask_b32_e32 v11, v10, v11, vcc
	v_cvt_f16_f32_e32 v11, v11
	v_add_co_u32_e32 v0, vcc, s4, v0
	global_store_short v[4:5], v11, off
	v_mov_b32_e32 v11, s5
	v_addc_co_u32_e32 v1, vcc, v1, v11, vcc
	v_subrev_co_u32_e32 v2, vcc, s4, v2
	v_subb_co_u32_e32 v3, vcc, v3, v11, vcc
	v_cmp_le_i64_e32 vcc, s[16:17], v[0:1]
	v_mov_b32_e32 v11, s11
	s_or_b64 s[14:15], vcc, s[14:15]
	v_add_co_u32_e32 v4, vcc, s10, v4
	v_addc_co_u32_e32 v5, vcc, v5, v11, vcc
	s_andn2_b64 exec, exec, s[14:15]
	s_cbranch_execz .LBB43_7
.LBB43_3:                               ; =>This Inner Loop Header: Depth=1
	v_cmp_le_i64_e32 vcc, s[12:13], v[0:1]
                                        ; implicit-def: $vgpr11
	s_and_saveexec_b64 s[0:1], vcc
	s_xor_b64 s[0:1], exec, s[0:1]
	s_cbranch_execz .LBB43_5
; %bb.4:                                ;   in Loop: Header=BB43_3 Depth=1
	v_xor_b32_e32 v12, v2, v3
	v_ffbh_i32_e32 v11, v3
	v_ashrrev_i32_e32 v12, 31, v12
	v_add_u32_e32 v11, -1, v11
	v_add_u32_e32 v12, 32, v12
	v_min_u32_e32 v13, v11, v12
	v_lshlrev_b64 v[11:12], v13, v[2:3]
	v_min_u32_e32 v11, 1, v11
	v_or_b32_e32 v11, v12, v11
	v_cvt_f32_i32_e32 v11, v11
	v_sub_u32_e32 v12, 32, v13
	v_ldexp_f32 v11, v11, v12
	v_cvt_f16_f32_e32 v11, v11
	v_mov_b32_e32 v12, s19
	v_fma_f16 v11, -s18, v11, v12
.LBB43_5:                               ;   in Loop: Header=BB43_3 Depth=1
	s_andn2_saveexec_b64 s[0:1], s[0:1]
	s_cbranch_execz .LBB43_2
; %bb.6:                                ;   in Loop: Header=BB43_3 Depth=1
	v_ffbh_u32_e32 v11, v1
	v_min_u32_e32 v13, 32, v11
	v_lshlrev_b64 v[11:12], v13, v[0:1]
	v_min_u32_e32 v11, 1, v11
	v_or_b32_e32 v11, v12, v11
	v_cvt_f32_u32_e32 v11, v11
	v_sub_u32_e32 v12, 32, v13
	v_ldexp_f32 v11, v11, v12
	v_cvt_f16_f32_e32 v11, v11
	v_mov_b32_e32 v12, s8
	v_fma_f16 v11, s18, v11, v12
	s_branch .LBB43_2
.LBB43_7:
	s_endpgm
	.section	.rodata,"a",@progbits
	.p2align	6, 0x0
	.amdhsa_kernel _ZN12_GLOBAL__N_141elementwise_kernel_with_index_grid_strideIlZZZN2at6native17logspace_cuda_outERKN3c106ScalarES6_ldRNS1_6TensorEENKUlvE0_clEvENKUlvE3_clEvEUllE_EEvT_T0_PN15function_traitsISD_E11result_typeE
		.amdhsa_group_segment_fixed_size 0
		.amdhsa_private_segment_fixed_size 0
		.amdhsa_kernarg_size 304
		.amdhsa_user_sgpr_count 6
		.amdhsa_user_sgpr_private_segment_buffer 1
		.amdhsa_user_sgpr_dispatch_ptr 0
		.amdhsa_user_sgpr_queue_ptr 0
		.amdhsa_user_sgpr_kernarg_segment_ptr 1
		.amdhsa_user_sgpr_dispatch_id 0
		.amdhsa_user_sgpr_flat_scratch_init 0
		.amdhsa_user_sgpr_private_segment_size 0
		.amdhsa_uses_dynamic_stack 0
		.amdhsa_system_sgpr_private_segment_wavefront_offset 0
		.amdhsa_system_sgpr_workgroup_id_x 1
		.amdhsa_system_sgpr_workgroup_id_y 0
		.amdhsa_system_sgpr_workgroup_id_z 0
		.amdhsa_system_sgpr_workgroup_info 0
		.amdhsa_system_vgpr_workitem_id 0
		.amdhsa_next_free_vgpr 23
		.amdhsa_next_free_sgpr 30
		.amdhsa_reserve_vcc 1
		.amdhsa_reserve_flat_scratch 0
		.amdhsa_float_round_mode_32 0
		.amdhsa_float_round_mode_16_64 0
		.amdhsa_float_denorm_mode_32 3
		.amdhsa_float_denorm_mode_16_64 3
		.amdhsa_dx10_clamp 1
		.amdhsa_ieee_mode 1
		.amdhsa_fp16_overflow 0
		.amdhsa_exception_fp_ieee_invalid_op 0
		.amdhsa_exception_fp_denorm_src 0
		.amdhsa_exception_fp_ieee_div_zero 0
		.amdhsa_exception_fp_ieee_overflow 0
		.amdhsa_exception_fp_ieee_underflow 0
		.amdhsa_exception_fp_ieee_inexact 0
		.amdhsa_exception_int_div_zero 0
	.end_amdhsa_kernel
	.section	.text._ZN12_GLOBAL__N_141elementwise_kernel_with_index_grid_strideIlZZZN2at6native17logspace_cuda_outERKN3c106ScalarES6_ldRNS1_6TensorEENKUlvE0_clEvENKUlvE3_clEvEUllE_EEvT_T0_PN15function_traitsISD_E11result_typeE,"axG",@progbits,_ZN12_GLOBAL__N_141elementwise_kernel_with_index_grid_strideIlZZZN2at6native17logspace_cuda_outERKN3c106ScalarES6_ldRNS1_6TensorEENKUlvE0_clEvENKUlvE3_clEvEUllE_EEvT_T0_PN15function_traitsISD_E11result_typeE,comdat
.Lfunc_end43:
	.size	_ZN12_GLOBAL__N_141elementwise_kernel_with_index_grid_strideIlZZZN2at6native17logspace_cuda_outERKN3c106ScalarES6_ldRNS1_6TensorEENKUlvE0_clEvENKUlvE3_clEvEUllE_EEvT_T0_PN15function_traitsISD_E11result_typeE, .Lfunc_end43-_ZN12_GLOBAL__N_141elementwise_kernel_with_index_grid_strideIlZZZN2at6native17logspace_cuda_outERKN3c106ScalarES6_ldRNS1_6TensorEENKUlvE0_clEvENKUlvE3_clEvEUllE_EEvT_T0_PN15function_traitsISD_E11result_typeE
                                        ; -- End function
	.set _ZN12_GLOBAL__N_141elementwise_kernel_with_index_grid_strideIlZZZN2at6native17logspace_cuda_outERKN3c106ScalarES6_ldRNS1_6TensorEENKUlvE0_clEvENKUlvE3_clEvEUllE_EEvT_T0_PN15function_traitsISD_E11result_typeE.num_vgpr, 23
	.set _ZN12_GLOBAL__N_141elementwise_kernel_with_index_grid_strideIlZZZN2at6native17logspace_cuda_outERKN3c106ScalarES6_ldRNS1_6TensorEENKUlvE0_clEvENKUlvE3_clEvEUllE_EEvT_T0_PN15function_traitsISD_E11result_typeE.num_agpr, 0
	.set _ZN12_GLOBAL__N_141elementwise_kernel_with_index_grid_strideIlZZZN2at6native17logspace_cuda_outERKN3c106ScalarES6_ldRNS1_6TensorEENKUlvE0_clEvENKUlvE3_clEvEUllE_EEvT_T0_PN15function_traitsISD_E11result_typeE.numbered_sgpr, 30
	.set _ZN12_GLOBAL__N_141elementwise_kernel_with_index_grid_strideIlZZZN2at6native17logspace_cuda_outERKN3c106ScalarES6_ldRNS1_6TensorEENKUlvE0_clEvENKUlvE3_clEvEUllE_EEvT_T0_PN15function_traitsISD_E11result_typeE.num_named_barrier, 0
	.set _ZN12_GLOBAL__N_141elementwise_kernel_with_index_grid_strideIlZZZN2at6native17logspace_cuda_outERKN3c106ScalarES6_ldRNS1_6TensorEENKUlvE0_clEvENKUlvE3_clEvEUllE_EEvT_T0_PN15function_traitsISD_E11result_typeE.private_seg_size, 0
	.set _ZN12_GLOBAL__N_141elementwise_kernel_with_index_grid_strideIlZZZN2at6native17logspace_cuda_outERKN3c106ScalarES6_ldRNS1_6TensorEENKUlvE0_clEvENKUlvE3_clEvEUllE_EEvT_T0_PN15function_traitsISD_E11result_typeE.uses_vcc, 1
	.set _ZN12_GLOBAL__N_141elementwise_kernel_with_index_grid_strideIlZZZN2at6native17logspace_cuda_outERKN3c106ScalarES6_ldRNS1_6TensorEENKUlvE0_clEvENKUlvE3_clEvEUllE_EEvT_T0_PN15function_traitsISD_E11result_typeE.uses_flat_scratch, 0
	.set _ZN12_GLOBAL__N_141elementwise_kernel_with_index_grid_strideIlZZZN2at6native17logspace_cuda_outERKN3c106ScalarES6_ldRNS1_6TensorEENKUlvE0_clEvENKUlvE3_clEvEUllE_EEvT_T0_PN15function_traitsISD_E11result_typeE.has_dyn_sized_stack, 0
	.set _ZN12_GLOBAL__N_141elementwise_kernel_with_index_grid_strideIlZZZN2at6native17logspace_cuda_outERKN3c106ScalarES6_ldRNS1_6TensorEENKUlvE0_clEvENKUlvE3_clEvEUllE_EEvT_T0_PN15function_traitsISD_E11result_typeE.has_recursion, 0
	.set _ZN12_GLOBAL__N_141elementwise_kernel_with_index_grid_strideIlZZZN2at6native17logspace_cuda_outERKN3c106ScalarES6_ldRNS1_6TensorEENKUlvE0_clEvENKUlvE3_clEvEUllE_EEvT_T0_PN15function_traitsISD_E11result_typeE.has_indirect_call, 0
	.section	.AMDGPU.csdata,"",@progbits
; Kernel info:
; codeLenInByte = 1324
; TotalNumSgprs: 34
; NumVgprs: 23
; ScratchSize: 0
; MemoryBound: 0
; FloatMode: 240
; IeeeMode: 1
; LDSByteSize: 0 bytes/workgroup (compile time only)
; SGPRBlocks: 4
; VGPRBlocks: 5
; NumSGPRsForWavesPerEU: 34
; NumVGPRsForWavesPerEU: 23
; Occupancy: 10
; WaveLimiterHint : 0
; COMPUTE_PGM_RSRC2:SCRATCH_EN: 0
; COMPUTE_PGM_RSRC2:USER_SGPR: 6
; COMPUTE_PGM_RSRC2:TRAP_HANDLER: 0
; COMPUTE_PGM_RSRC2:TGID_X_EN: 1
; COMPUTE_PGM_RSRC2:TGID_Y_EN: 0
; COMPUTE_PGM_RSRC2:TGID_Z_EN: 0
; COMPUTE_PGM_RSRC2:TIDIG_COMP_CNT: 0
	.section	.text._ZN12_GLOBAL__N_141elementwise_kernel_with_index_grid_strideIiZZZN2at6native17logspace_cuda_outERKN3c106ScalarES6_ldRNS1_6TensorEENKUlvE0_clEvENKUlvE4_clEvEUllE_EEvT_T0_PN15function_traitsISD_E11result_typeE,"axG",@progbits,_ZN12_GLOBAL__N_141elementwise_kernel_with_index_grid_strideIiZZZN2at6native17logspace_cuda_outERKN3c106ScalarES6_ldRNS1_6TensorEENKUlvE0_clEvENKUlvE4_clEvEUllE_EEvT_T0_PN15function_traitsISD_E11result_typeE,comdat
	.globl	_ZN12_GLOBAL__N_141elementwise_kernel_with_index_grid_strideIiZZZN2at6native17logspace_cuda_outERKN3c106ScalarES6_ldRNS1_6TensorEENKUlvE0_clEvENKUlvE4_clEvEUllE_EEvT_T0_PN15function_traitsISD_E11result_typeE ; -- Begin function _ZN12_GLOBAL__N_141elementwise_kernel_with_index_grid_strideIiZZZN2at6native17logspace_cuda_outERKN3c106ScalarES6_ldRNS1_6TensorEENKUlvE0_clEvENKUlvE4_clEvEUllE_EEvT_T0_PN15function_traitsISD_E11result_typeE
	.p2align	8
	.type	_ZN12_GLOBAL__N_141elementwise_kernel_with_index_grid_strideIiZZZN2at6native17logspace_cuda_outERKN3c106ScalarES6_ldRNS1_6TensorEENKUlvE0_clEvENKUlvE4_clEvEUllE_EEvT_T0_PN15function_traitsISD_E11result_typeE,@function
_ZN12_GLOBAL__N_141elementwise_kernel_with_index_grid_strideIiZZZN2at6native17logspace_cuda_outERKN3c106ScalarES6_ldRNS1_6TensorEENKUlvE0_clEvENKUlvE4_clEvEUllE_EEvT_T0_PN15function_traitsISD_E11result_typeE: ; @_ZN12_GLOBAL__N_141elementwise_kernel_with_index_grid_strideIiZZZN2at6native17logspace_cuda_outERKN3c106ScalarES6_ldRNS1_6TensorEENKUlvE0_clEvENKUlvE4_clEvEUllE_EEvT_T0_PN15function_traitsISD_E11result_typeE
; %bb.0:
	s_load_dword s2, s[4:5], 0x3c
	s_load_dword s14, s[4:5], 0x0
	s_add_u32 s0, s4, 48
	s_addc_u32 s1, s5, 0
	s_waitcnt lgkmcnt(0)
	s_and_b32 s2, s2, 0xffff
	s_mul_i32 s6, s6, s2
	v_add_u32_e32 v0, s6, v0
	v_cmp_gt_i32_e32 vcc, s14, v0
	s_and_saveexec_b64 s[6:7], vcc
	s_cbranch_execz .LBB44_7
; %bb.1:
	s_load_dword s3, s[0:1], 0x0
	s_load_dword s6, s[4:5], 0x18
	s_load_dwordx4 s[20:23], s[4:5], 0x8
	s_load_dwordx4 s[8:11], s[4:5], 0x20
	v_ashrrev_i32_e32 v1, 31, v0
	v_not_b32_e32 v2, v0
	v_not_b32_e32 v3, v1
	s_waitcnt lgkmcnt(0)
	v_mov_b32_e32 v4, s23
	v_add_co_u32_e32 v2, vcc, s22, v2
	v_addc_co_u32_e32 v3, vcc, v3, v4, vcc
	v_lshlrev_b64 v[4:5], 1, v[0:1]
	s_mul_i32 s4, s3, s2
	s_lshl_b32 s18, s21, 16
	s_ashr_i32 s5, s4, 31
	v_mov_b32_e32 v6, s11
	v_add_co_u32_e32 v4, vcc, s10, v4
	s_lshl_b32 s15, s6, 16
	s_pack_lh_b32_b16 s16, 0, s20
	s_lshl_b32 s17, s20, 16
	v_cmp_eq_f32_e64 s[6:7], s18, 1.0
	v_addc_co_u32_e32 v5, vcc, v6, v5, vcc
	s_lshl_b64 s[10:11], s[4:5], 1
	s_mov_b64 s[12:13], 0
	s_movk_i32 s19, 0x7fff
	s_mov_b32 s20, 0x3f2aaaab
	v_mov_b32_e32 v6, 0x3ecccdef
	s_mov_b32 s21, 0x3f317218
	s_movk_i32 s22, 0x204
	s_mov_b32 s23, 0x7f800000
	s_mov_b32 s24, 0x42b17218
	;; [unrolled: 1-line block ×4, first 2 shown]
	s_brev_b32 s27, -2
	v_mov_b32_e32 v7, 0x7fc00000
	v_mov_b32_e32 v8, 0x37000000
	;; [unrolled: 1-line block ×4, first 2 shown]
	s_branch .LBB44_3
.LBB44_2:                               ;   in Loop: Header=BB44_3 Depth=1
	s_or_b64 exec, exec, s[0:1]
	v_bfe_u32 v12, v11, 16, 1
	v_add3_u32 v12, v11, v12, s19
	v_and_b32_e32 v12, 0xffff0000, v12
	v_cmp_o_f32_e32 vcc, v11, v11
	v_cndmask_b32_e32 v11, v7, v12, vcc
	v_cndmask_b32_e64 v13, v11, 1.0, s[6:7]
	v_mov_b32_e32 v11, s18
	v_cmp_neq_f32_e32 vcc, 0, v13
	v_cndmask_b32_e32 v14, 1.0, v11, vcc
	v_frexp_mant_f32_e64 v11, |v14|
	v_cmp_gt_f32_e32 vcc, s20, v11
	v_cndmask_b32_e64 v12, 1.0, 2.0, vcc
	v_mul_f32_e32 v11, v11, v12
	v_add_f32_e32 v12, 1.0, v11
	v_rcp_f32_e32 v15, v12
	v_add_f32_e32 v16, -1.0, v11
	v_add_f32_e32 v17, -1.0, v12
	v_sub_f32_e32 v11, v11, v17
	v_mul_f32_e32 v17, v16, v15
	v_mul_f32_e32 v18, v12, v17
	v_fma_f32 v12, v17, v12, -v18
	v_fmac_f32_e32 v12, v17, v11
	v_add_f32_e32 v11, v18, v12
	v_sub_f32_e32 v19, v16, v11
	v_sub_f32_e32 v18, v11, v18
	;; [unrolled: 1-line block ×5, first 2 shown]
	v_add_f32_e32 v11, v12, v11
	v_add_f32_e32 v11, v19, v11
	v_mul_f32_e32 v11, v15, v11
	v_add_f32_e32 v15, v17, v11
	v_sub_f32_e32 v12, v15, v17
	v_sub_f32_e32 v16, v11, v12
	v_mul_f32_e32 v11, v15, v15
	v_fma_f32 v12, v15, v15, -v11
	v_add_f32_e32 v17, v16, v16
	v_fmac_f32_e32 v12, v15, v17
	v_add_f32_e32 v17, v11, v12
	v_mov_b32_e32 v18, 0x3e91f4c4
	v_fmac_f32_e32 v18, 0x3e76c4e1, v17
	v_fma_f32 v18, v17, v18, v6
	v_sub_f32_e32 v11, v17, v11
	v_mul_f32_e32 v19, v15, v17
	v_sub_f32_e32 v11, v12, v11
	v_fma_f32 v20, v17, v15, -v19
	v_mul_f32_e32 v12, v17, v18
	v_fmac_f32_e32 v20, v17, v16
	v_fma_f32 v17, v17, v18, -v12
	v_fmac_f32_e32 v17, v11, v18
	v_fmac_f32_e32 v20, v11, v15
	v_add_f32_e32 v11, v12, v17
	v_sub_f32_e32 v12, v11, v12
	v_sub_f32_e32 v12, v17, v12
	v_add_f32_e32 v17, 0x3f2aaaaa, v11
	v_add_f32_e32 v18, 0xbf2aaaaa, v17
	v_sub_f32_e32 v11, v11, v18
	v_add_f32_e32 v12, 0x31739010, v12
	v_add_f32_e32 v11, v12, v11
	v_add_f32_e32 v18, v17, v11
	v_sub_f32_e32 v12, v17, v18
	v_add_f32_e32 v17, v11, v12
	v_cvt_f64_f32_e64 v[11:12], |v14|
	v_ldexp_f32 v15, v15, 1
	v_cmp_neq_f32_e64 s[2:3], v13, |v13|
	v_cmp_lt_f32_e64 s[28:29], |v14|, 1.0
	v_frexp_exp_i32_f64_e32 v11, v[11:12]
	v_add_f32_e32 v12, v19, v20
	v_mul_f32_e32 v21, v12, v18
	v_fma_f32 v22, v12, v18, -v21
	v_fmac_f32_e32 v22, v12, v17
	v_sub_f32_e32 v12, v12, v19
	v_sub_f32_e32 v12, v20, v12
	v_fmac_f32_e32 v22, v12, v18
	v_subbrev_co_u32_e32 v11, vcc, 0, v11, vcc
	v_cvt_f32_i32_e32 v11, v11
	s_xor_b64 s[2:3], s[2:3], s[28:29]
	v_cmp_class_f32_e64 s[28:29], v14, s22
	v_mul_f32_e32 v12, 0x3f317218, v11
	v_fma_f32 v17, v11, s21, -v12
	v_fmac_f32_e32 v17, 0xb102e308, v11
	v_ldexp_f32 v11, v16, 1
	v_add_f32_e32 v16, v12, v17
	v_sub_f32_e32 v12, v16, v12
	v_sub_f32_e32 v12, v17, v12
	v_add_f32_e32 v17, v21, v22
	v_sub_f32_e32 v18, v17, v21
	v_add_f32_e32 v19, v15, v17
	v_sub_f32_e32 v18, v22, v18
	v_sub_f32_e32 v15, v19, v15
	;; [unrolled: 1-line block ×3, first 2 shown]
	v_add_f32_e32 v11, v11, v18
	v_add_f32_e32 v11, v11, v15
	;; [unrolled: 1-line block ×3, first 2 shown]
	v_sub_f32_e32 v17, v15, v19
	v_sub_f32_e32 v11, v11, v17
	v_add_f32_e32 v17, v16, v15
	v_sub_f32_e32 v18, v17, v16
	v_sub_f32_e32 v19, v17, v18
	;; [unrolled: 1-line block ×4, first 2 shown]
	v_add_f32_e32 v15, v15, v16
	v_add_f32_e32 v16, v12, v11
	v_sub_f32_e32 v18, v16, v12
	v_sub_f32_e32 v19, v16, v18
	;; [unrolled: 1-line block ×4, first 2 shown]
	v_add_f32_e32 v11, v11, v12
	v_add_f32_e32 v12, v16, v15
	;; [unrolled: 1-line block ×3, first 2 shown]
	v_sub_f32_e32 v16, v15, v17
	v_sub_f32_e32 v12, v12, v16
	v_add_f32_e32 v11, v11, v12
	v_add_f32_e32 v12, v15, v11
	v_sub_f32_e32 v15, v12, v15
	v_sub_f32_e32 v11, v11, v15
	v_mul_f32_e32 v15, v13, v12
	v_fma_f32 v12, v13, v12, -v15
	v_fmac_f32_e32 v12, v13, v11
	v_add_f32_e32 v11, v15, v12
	v_cmp_class_f32_e64 vcc, v15, s22
	v_sub_f32_e32 v16, v11, v15
	v_cndmask_b32_e32 v11, v11, v15, vcc
	v_cmp_eq_f32_e32 vcc, s24, v11
	v_cndmask_b32_e32 v15, 0, v8, vcc
	v_sub_f32_e32 v12, v12, v16
	v_sub_f32_e32 v16, v11, v15
	v_mul_f32_e32 v17, 0x3fb8aa3b, v16
	v_fma_f32 v18, v16, s25, -v17
	v_rndne_f32_e32 v19, v17
	v_fmac_f32_e32 v18, 0x32a5705f, v16
	v_sub_f32_e32 v17, v17, v19
	v_add_f32_e32 v17, v17, v18
	v_exp_f32_e32 v17, v17
	v_cvt_i32_f32_e32 v18, v19
	v_cmp_neq_f32_e64 vcc, |v11|, s23
	v_cndmask_b32_e32 v11, 0, v12, vcc
	v_cmp_ngt_f32_e32 vcc, s26, v16
	v_ldexp_f32 v12, v17, v18
	v_cndmask_b32_e32 v12, 0, v12, vcc
	v_cmp_nlt_f32_e32 vcc, s24, v16
	v_add_f32_e32 v11, v15, v11
	v_cndmask_b32_e32 v12, v9, v12, vcc
	v_fma_f32 v11, v12, v11, v12
	v_cmp_class_f32_e64 vcc, v12, s22
	v_cndmask_b32_e32 v11, v11, v12, vcc
	v_trunc_f32_e32 v12, v13
	v_cmp_eq_f32_e32 vcc, v12, v13
	v_mul_f32_e32 v12, 0.5, v13
	v_trunc_f32_e32 v15, v12
	v_cmp_neq_f32_e64 s[0:1], v15, v12
	s_and_b64 s[0:1], vcc, s[0:1]
	v_cndmask_b32_e64 v12, 1.0, v14, s[0:1]
	v_bfi_b32 v11, s27, v11, v12
	v_cndmask_b32_e32 v12, v7, v11, vcc
	v_cmp_gt_f32_e32 vcc, 0, v14
	v_cndmask_b32_e32 v11, v11, v12, vcc
	v_cndmask_b32_e64 v12, v9, 0, s[2:3]
	v_cmp_neq_f32_e64 vcc, |v14|, 1.0
	v_cndmask_b32_e32 v12, 1.0, v12, vcc
	v_cmp_class_f32_e64 vcc, v13, s22
	v_cndmask_b32_e32 v11, v11, v12, vcc
	v_cmp_eq_f32_e32 vcc, 0, v14
	v_cmp_gt_f32_e64 s[2:3], 0, v13
	s_xor_b64 s[2:3], s[2:3], vcc
	v_cndmask_b32_e64 v12, v9, 0, s[2:3]
	v_cndmask_b32_e64 v15, 0, v14, s[0:1]
	v_bfi_b32 v12, s27, v12, v15
	s_or_b64 vcc, vcc, s[28:29]
	v_cndmask_b32_e32 v11, v11, v12, vcc
	v_cmp_o_f32_e32 vcc, v14, v13
	v_cndmask_b32_e32 v11, v7, v11, vcc
	v_bfe_u32 v12, v11, 16, 1
	v_add3_u32 v12, v11, v12, s19
	v_lshrrev_b32_e32 v12, 16, v12
	v_cmp_o_f32_e32 vcc, v11, v11
	v_cndmask_b32_e32 v11, v10, v12, vcc
	global_store_short v[4:5], v11, off
	v_mov_b32_e32 v11, s5
	v_add_co_u32_e32 v0, vcc, s4, v0
	v_addc_co_u32_e32 v1, vcc, v1, v11, vcc
	v_subrev_co_u32_e32 v2, vcc, s4, v2
	v_subb_co_u32_e32 v3, vcc, v3, v11, vcc
	v_cmp_le_i32_e32 vcc, s14, v0
	v_mov_b32_e32 v11, s11
	s_or_b64 s[12:13], vcc, s[12:13]
	v_add_co_u32_e32 v4, vcc, s10, v4
	v_addc_co_u32_e32 v5, vcc, v5, v11, vcc
	s_andn2_b64 exec, exec, s[12:13]
	s_cbranch_execz .LBB44_7
.LBB44_3:                               ; =>This Inner Loop Header: Depth=1
	v_cmp_le_i64_e32 vcc, s[8:9], v[0:1]
                                        ; implicit-def: $vgpr11
	s_and_saveexec_b64 s[0:1], vcc
	s_xor_b64 s[0:1], exec, s[0:1]
	s_cbranch_execz .LBB44_5
; %bb.4:                                ;   in Loop: Header=BB44_3 Depth=1
	v_xor_b32_e32 v12, v2, v3
	v_ffbh_i32_e32 v11, v3
	v_ashrrev_i32_e32 v12, 31, v12
	v_add_u32_e32 v11, -1, v11
	v_add_u32_e32 v12, 32, v12
	v_min_u32_e32 v13, v11, v12
	v_lshlrev_b64 v[11:12], v13, v[2:3]
	v_min_u32_e32 v11, 1, v11
	v_or_b32_e32 v11, v12, v11
	v_cvt_f32_i32_e32 v11, v11
	v_sub_u32_e32 v12, 32, v13
	v_ldexp_f32 v11, v11, v12
	v_bfe_u32 v12, v11, 16, 1
	v_add3_u32 v11, v11, v12, s19
	v_and_b32_e32 v11, 0xffff0000, v11
	v_mul_f32_e32 v11, s15, v11
	v_bfe_u32 v12, v11, 16, 1
	v_add3_u32 v12, v11, v12, s19
	v_and_b32_e32 v12, 0xffff0000, v12
	v_cmp_o_f32_e32 vcc, v11, v11
	v_cndmask_b32_e32 v11, v7, v12, vcc
	v_sub_f32_e32 v11, s16, v11
.LBB44_5:                               ;   in Loop: Header=BB44_3 Depth=1
	s_andn2_saveexec_b64 s[0:1], s[0:1]
	s_cbranch_execz .LBB44_2
; %bb.6:                                ;   in Loop: Header=BB44_3 Depth=1
	v_cvt_f32_i32_e32 v11, v0
	v_bfe_u32 v12, v11, 16, 1
	v_add3_u32 v11, v11, v12, s19
	v_and_b32_e32 v11, 0xffff0000, v11
	v_mul_f32_e32 v11, s15, v11
	v_bfe_u32 v12, v11, 16, 1
	v_add3_u32 v12, v11, v12, s19
	v_and_b32_e32 v12, 0xffff0000, v12
	v_cmp_o_f32_e32 vcc, v11, v11
	v_cndmask_b32_e32 v11, v7, v12, vcc
	v_add_f32_e32 v11, s17, v11
	s_branch .LBB44_2
.LBB44_7:
	s_endpgm
	.section	.rodata,"a",@progbits
	.p2align	6, 0x0
	.amdhsa_kernel _ZN12_GLOBAL__N_141elementwise_kernel_with_index_grid_strideIiZZZN2at6native17logspace_cuda_outERKN3c106ScalarES6_ldRNS1_6TensorEENKUlvE0_clEvENKUlvE4_clEvEUllE_EEvT_T0_PN15function_traitsISD_E11result_typeE
		.amdhsa_group_segment_fixed_size 0
		.amdhsa_private_segment_fixed_size 0
		.amdhsa_kernarg_size 304
		.amdhsa_user_sgpr_count 6
		.amdhsa_user_sgpr_private_segment_buffer 1
		.amdhsa_user_sgpr_dispatch_ptr 0
		.amdhsa_user_sgpr_queue_ptr 0
		.amdhsa_user_sgpr_kernarg_segment_ptr 1
		.amdhsa_user_sgpr_dispatch_id 0
		.amdhsa_user_sgpr_flat_scratch_init 0
		.amdhsa_user_sgpr_private_segment_size 0
		.amdhsa_uses_dynamic_stack 0
		.amdhsa_system_sgpr_private_segment_wavefront_offset 0
		.amdhsa_system_sgpr_workgroup_id_x 1
		.amdhsa_system_sgpr_workgroup_id_y 0
		.amdhsa_system_sgpr_workgroup_id_z 0
		.amdhsa_system_sgpr_workgroup_info 0
		.amdhsa_system_vgpr_workitem_id 0
		.amdhsa_next_free_vgpr 23
		.amdhsa_next_free_sgpr 30
		.amdhsa_reserve_vcc 1
		.amdhsa_reserve_flat_scratch 0
		.amdhsa_float_round_mode_32 0
		.amdhsa_float_round_mode_16_64 0
		.amdhsa_float_denorm_mode_32 3
		.amdhsa_float_denorm_mode_16_64 3
		.amdhsa_dx10_clamp 1
		.amdhsa_ieee_mode 1
		.amdhsa_fp16_overflow 0
		.amdhsa_exception_fp_ieee_invalid_op 0
		.amdhsa_exception_fp_denorm_src 0
		.amdhsa_exception_fp_ieee_div_zero 0
		.amdhsa_exception_fp_ieee_overflow 0
		.amdhsa_exception_fp_ieee_underflow 0
		.amdhsa_exception_fp_ieee_inexact 0
		.amdhsa_exception_int_div_zero 0
	.end_amdhsa_kernel
	.section	.text._ZN12_GLOBAL__N_141elementwise_kernel_with_index_grid_strideIiZZZN2at6native17logspace_cuda_outERKN3c106ScalarES6_ldRNS1_6TensorEENKUlvE0_clEvENKUlvE4_clEvEUllE_EEvT_T0_PN15function_traitsISD_E11result_typeE,"axG",@progbits,_ZN12_GLOBAL__N_141elementwise_kernel_with_index_grid_strideIiZZZN2at6native17logspace_cuda_outERKN3c106ScalarES6_ldRNS1_6TensorEENKUlvE0_clEvENKUlvE4_clEvEUllE_EEvT_T0_PN15function_traitsISD_E11result_typeE,comdat
.Lfunc_end44:
	.size	_ZN12_GLOBAL__N_141elementwise_kernel_with_index_grid_strideIiZZZN2at6native17logspace_cuda_outERKN3c106ScalarES6_ldRNS1_6TensorEENKUlvE0_clEvENKUlvE4_clEvEUllE_EEvT_T0_PN15function_traitsISD_E11result_typeE, .Lfunc_end44-_ZN12_GLOBAL__N_141elementwise_kernel_with_index_grid_strideIiZZZN2at6native17logspace_cuda_outERKN3c106ScalarES6_ldRNS1_6TensorEENKUlvE0_clEvENKUlvE4_clEvEUllE_EEvT_T0_PN15function_traitsISD_E11result_typeE
                                        ; -- End function
	.set _ZN12_GLOBAL__N_141elementwise_kernel_with_index_grid_strideIiZZZN2at6native17logspace_cuda_outERKN3c106ScalarES6_ldRNS1_6TensorEENKUlvE0_clEvENKUlvE4_clEvEUllE_EEvT_T0_PN15function_traitsISD_E11result_typeE.num_vgpr, 23
	.set _ZN12_GLOBAL__N_141elementwise_kernel_with_index_grid_strideIiZZZN2at6native17logspace_cuda_outERKN3c106ScalarES6_ldRNS1_6TensorEENKUlvE0_clEvENKUlvE4_clEvEUllE_EEvT_T0_PN15function_traitsISD_E11result_typeE.num_agpr, 0
	.set _ZN12_GLOBAL__N_141elementwise_kernel_with_index_grid_strideIiZZZN2at6native17logspace_cuda_outERKN3c106ScalarES6_ldRNS1_6TensorEENKUlvE0_clEvENKUlvE4_clEvEUllE_EEvT_T0_PN15function_traitsISD_E11result_typeE.numbered_sgpr, 30
	.set _ZN12_GLOBAL__N_141elementwise_kernel_with_index_grid_strideIiZZZN2at6native17logspace_cuda_outERKN3c106ScalarES6_ldRNS1_6TensorEENKUlvE0_clEvENKUlvE4_clEvEUllE_EEvT_T0_PN15function_traitsISD_E11result_typeE.num_named_barrier, 0
	.set _ZN12_GLOBAL__N_141elementwise_kernel_with_index_grid_strideIiZZZN2at6native17logspace_cuda_outERKN3c106ScalarES6_ldRNS1_6TensorEENKUlvE0_clEvENKUlvE4_clEvEUllE_EEvT_T0_PN15function_traitsISD_E11result_typeE.private_seg_size, 0
	.set _ZN12_GLOBAL__N_141elementwise_kernel_with_index_grid_strideIiZZZN2at6native17logspace_cuda_outERKN3c106ScalarES6_ldRNS1_6TensorEENKUlvE0_clEvENKUlvE4_clEvEUllE_EEvT_T0_PN15function_traitsISD_E11result_typeE.uses_vcc, 1
	.set _ZN12_GLOBAL__N_141elementwise_kernel_with_index_grid_strideIiZZZN2at6native17logspace_cuda_outERKN3c106ScalarES6_ldRNS1_6TensorEENKUlvE0_clEvENKUlvE4_clEvEUllE_EEvT_T0_PN15function_traitsISD_E11result_typeE.uses_flat_scratch, 0
	.set _ZN12_GLOBAL__N_141elementwise_kernel_with_index_grid_strideIiZZZN2at6native17logspace_cuda_outERKN3c106ScalarES6_ldRNS1_6TensorEENKUlvE0_clEvENKUlvE4_clEvEUllE_EEvT_T0_PN15function_traitsISD_E11result_typeE.has_dyn_sized_stack, 0
	.set _ZN12_GLOBAL__N_141elementwise_kernel_with_index_grid_strideIiZZZN2at6native17logspace_cuda_outERKN3c106ScalarES6_ldRNS1_6TensorEENKUlvE0_clEvENKUlvE4_clEvEUllE_EEvT_T0_PN15function_traitsISD_E11result_typeE.has_recursion, 0
	.set _ZN12_GLOBAL__N_141elementwise_kernel_with_index_grid_strideIiZZZN2at6native17logspace_cuda_outERKN3c106ScalarES6_ldRNS1_6TensorEENKUlvE0_clEvENKUlvE4_clEvEUllE_EEvT_T0_PN15function_traitsISD_E11result_typeE.has_indirect_call, 0
	.section	.AMDGPU.csdata,"",@progbits
; Kernel info:
; codeLenInByte = 1456
; TotalNumSgprs: 34
; NumVgprs: 23
; ScratchSize: 0
; MemoryBound: 0
; FloatMode: 240
; IeeeMode: 1
; LDSByteSize: 0 bytes/workgroup (compile time only)
; SGPRBlocks: 4
; VGPRBlocks: 5
; NumSGPRsForWavesPerEU: 34
; NumVGPRsForWavesPerEU: 23
; Occupancy: 10
; WaveLimiterHint : 0
; COMPUTE_PGM_RSRC2:SCRATCH_EN: 0
; COMPUTE_PGM_RSRC2:USER_SGPR: 6
; COMPUTE_PGM_RSRC2:TRAP_HANDLER: 0
; COMPUTE_PGM_RSRC2:TGID_X_EN: 1
; COMPUTE_PGM_RSRC2:TGID_Y_EN: 0
; COMPUTE_PGM_RSRC2:TGID_Z_EN: 0
; COMPUTE_PGM_RSRC2:TIDIG_COMP_CNT: 0
	.section	.text._ZN12_GLOBAL__N_141elementwise_kernel_with_index_grid_strideIlZZZN2at6native17logspace_cuda_outERKN3c106ScalarES6_ldRNS1_6TensorEENKUlvE0_clEvENKUlvE4_clEvEUllE_EEvT_T0_PN15function_traitsISD_E11result_typeE,"axG",@progbits,_ZN12_GLOBAL__N_141elementwise_kernel_with_index_grid_strideIlZZZN2at6native17logspace_cuda_outERKN3c106ScalarES6_ldRNS1_6TensorEENKUlvE0_clEvENKUlvE4_clEvEUllE_EEvT_T0_PN15function_traitsISD_E11result_typeE,comdat
	.globl	_ZN12_GLOBAL__N_141elementwise_kernel_with_index_grid_strideIlZZZN2at6native17logspace_cuda_outERKN3c106ScalarES6_ldRNS1_6TensorEENKUlvE0_clEvENKUlvE4_clEvEUllE_EEvT_T0_PN15function_traitsISD_E11result_typeE ; -- Begin function _ZN12_GLOBAL__N_141elementwise_kernel_with_index_grid_strideIlZZZN2at6native17logspace_cuda_outERKN3c106ScalarES6_ldRNS1_6TensorEENKUlvE0_clEvENKUlvE4_clEvEUllE_EEvT_T0_PN15function_traitsISD_E11result_typeE
	.p2align	8
	.type	_ZN12_GLOBAL__N_141elementwise_kernel_with_index_grid_strideIlZZZN2at6native17logspace_cuda_outERKN3c106ScalarES6_ldRNS1_6TensorEENKUlvE0_clEvENKUlvE4_clEvEUllE_EEvT_T0_PN15function_traitsISD_E11result_typeE,@function
_ZN12_GLOBAL__N_141elementwise_kernel_with_index_grid_strideIlZZZN2at6native17logspace_cuda_outERKN3c106ScalarES6_ldRNS1_6TensorEENKUlvE0_clEvENKUlvE4_clEvEUllE_EEvT_T0_PN15function_traitsISD_E11result_typeE: ; @_ZN12_GLOBAL__N_141elementwise_kernel_with_index_grid_strideIlZZZN2at6native17logspace_cuda_outERKN3c106ScalarES6_ldRNS1_6TensorEENKUlvE0_clEvENKUlvE4_clEvEUllE_EEvT_T0_PN15function_traitsISD_E11result_typeE
; %bb.0:
	s_load_dword s2, s[4:5], 0x3c
	s_load_dwordx2 s[12:13], s[4:5], 0x0
	s_add_u32 s0, s4, 48
	s_addc_u32 s1, s5, 0
	v_mov_b32_e32 v1, 0
	s_waitcnt lgkmcnt(0)
	s_and_b32 s2, s2, 0xffff
	v_mov_b32_e32 v2, s6
	v_mad_u64_u32 v[0:1], s[6:7], s2, v2, v[0:1]
	v_cmp_gt_i64_e32 vcc, s[12:13], v[0:1]
	s_and_saveexec_b64 s[6:7], vcc
	s_cbranch_execz .LBB45_7
; %bb.1:
	s_load_dword s3, s[0:1], 0x0
	s_load_dword s6, s[4:5], 0x18
	s_load_dwordx4 s[20:23], s[4:5], 0x8
	s_load_dwordx4 s[8:11], s[4:5], 0x20
	v_not_b32_e32 v2, v0
	v_not_b32_e32 v3, v1
	s_waitcnt lgkmcnt(0)
	s_mul_hi_u32 s5, s2, s3
	v_mov_b32_e32 v4, s23
	v_add_co_u32_e32 v2, vcc, s22, v2
	v_addc_co_u32_e32 v3, vcc, v3, v4, vcc
	v_lshlrev_b64 v[4:5], 1, v[0:1]
	s_mul_i32 s4, s2, s3
	s_lshl_b32 s19, s21, 16
	v_mov_b32_e32 v6, s11
	v_add_co_u32_e32 v4, vcc, s10, v4
	s_lshl_b32 s16, s6, 16
	s_pack_lh_b32_b16 s17, 0, s20
	s_lshl_b32 s18, s20, 16
	v_cmp_eq_f32_e64 s[6:7], s19, 1.0
	v_addc_co_u32_e32 v5, vcc, v6, v5, vcc
	s_lshl_b64 s[10:11], s[4:5], 1
	s_mov_b64 s[14:15], 0
	s_movk_i32 s20, 0x7fff
	s_mov_b32 s21, 0x3f2aaaab
	v_mov_b32_e32 v6, 0x3ecccdef
	s_mov_b32 s22, 0x3f317218
	s_movk_i32 s23, 0x204
	s_mov_b32 s24, 0x7f800000
	s_mov_b32 s25, 0x42b17218
	;; [unrolled: 1-line block ×4, first 2 shown]
	s_brev_b32 s28, -2
	v_mov_b32_e32 v7, 0x7fc00000
	v_mov_b32_e32 v8, 0x37000000
	;; [unrolled: 1-line block ×4, first 2 shown]
	s_branch .LBB45_3
.LBB45_2:                               ;   in Loop: Header=BB45_3 Depth=1
	s_or_b64 exec, exec, s[0:1]
	v_bfe_u32 v12, v11, 16, 1
	v_add3_u32 v12, v11, v12, s20
	v_and_b32_e32 v12, 0xffff0000, v12
	v_cmp_o_f32_e32 vcc, v11, v11
	v_cndmask_b32_e32 v11, v7, v12, vcc
	v_cndmask_b32_e64 v13, v11, 1.0, s[6:7]
	v_mov_b32_e32 v11, s19
	v_cmp_neq_f32_e32 vcc, 0, v13
	v_cndmask_b32_e32 v14, 1.0, v11, vcc
	v_frexp_mant_f32_e64 v11, |v14|
	v_cmp_gt_f32_e32 vcc, s21, v11
	v_cndmask_b32_e64 v12, 1.0, 2.0, vcc
	v_mul_f32_e32 v11, v11, v12
	v_add_f32_e32 v12, 1.0, v11
	v_rcp_f32_e32 v15, v12
	v_add_f32_e32 v16, -1.0, v11
	v_add_f32_e32 v17, -1.0, v12
	v_sub_f32_e32 v11, v11, v17
	v_mul_f32_e32 v17, v16, v15
	v_mul_f32_e32 v18, v12, v17
	v_fma_f32 v12, v17, v12, -v18
	v_fmac_f32_e32 v12, v17, v11
	v_add_f32_e32 v11, v18, v12
	v_sub_f32_e32 v19, v16, v11
	v_sub_f32_e32 v18, v11, v18
	;; [unrolled: 1-line block ×5, first 2 shown]
	v_add_f32_e32 v11, v12, v11
	v_add_f32_e32 v11, v19, v11
	v_mul_f32_e32 v11, v15, v11
	v_add_f32_e32 v15, v17, v11
	v_sub_f32_e32 v12, v15, v17
	v_sub_f32_e32 v16, v11, v12
	v_mul_f32_e32 v11, v15, v15
	v_fma_f32 v12, v15, v15, -v11
	v_add_f32_e32 v17, v16, v16
	v_fmac_f32_e32 v12, v15, v17
	v_add_f32_e32 v17, v11, v12
	v_mov_b32_e32 v18, 0x3e91f4c4
	v_fmac_f32_e32 v18, 0x3e76c4e1, v17
	v_fma_f32 v18, v17, v18, v6
	v_sub_f32_e32 v11, v17, v11
	v_mul_f32_e32 v19, v15, v17
	v_sub_f32_e32 v11, v12, v11
	v_fma_f32 v20, v17, v15, -v19
	v_mul_f32_e32 v12, v17, v18
	v_fmac_f32_e32 v20, v17, v16
	v_fma_f32 v17, v17, v18, -v12
	v_fmac_f32_e32 v17, v11, v18
	v_fmac_f32_e32 v20, v11, v15
	v_add_f32_e32 v11, v12, v17
	v_sub_f32_e32 v12, v11, v12
	v_sub_f32_e32 v12, v17, v12
	v_add_f32_e32 v17, 0x3f2aaaaa, v11
	v_add_f32_e32 v18, 0xbf2aaaaa, v17
	v_sub_f32_e32 v11, v11, v18
	v_add_f32_e32 v12, 0x31739010, v12
	v_add_f32_e32 v11, v12, v11
	;; [unrolled: 1-line block ×3, first 2 shown]
	v_sub_f32_e32 v12, v17, v18
	v_add_f32_e32 v17, v11, v12
	v_cvt_f64_f32_e64 v[11:12], |v14|
	v_ldexp_f32 v15, v15, 1
	v_cmp_neq_f32_e64 s[2:3], v13, |v13|
	v_cmp_lt_f32_e64 s[30:31], |v14|, 1.0
	v_frexp_exp_i32_f64_e32 v11, v[11:12]
	v_add_f32_e32 v12, v19, v20
	v_mul_f32_e32 v21, v12, v18
	v_fma_f32 v22, v12, v18, -v21
	v_fmac_f32_e32 v22, v12, v17
	v_sub_f32_e32 v12, v12, v19
	v_sub_f32_e32 v12, v20, v12
	v_fmac_f32_e32 v22, v12, v18
	v_subbrev_co_u32_e32 v11, vcc, 0, v11, vcc
	v_cvt_f32_i32_e32 v11, v11
	s_xor_b64 s[2:3], s[2:3], s[30:31]
	v_cmp_class_f32_e64 s[30:31], v14, s23
	v_mul_f32_e32 v12, 0x3f317218, v11
	v_fma_f32 v17, v11, s22, -v12
	v_fmac_f32_e32 v17, 0xb102e308, v11
	v_ldexp_f32 v11, v16, 1
	v_add_f32_e32 v16, v12, v17
	v_sub_f32_e32 v12, v16, v12
	v_sub_f32_e32 v12, v17, v12
	v_add_f32_e32 v17, v21, v22
	v_sub_f32_e32 v18, v17, v21
	v_add_f32_e32 v19, v15, v17
	v_sub_f32_e32 v18, v22, v18
	v_sub_f32_e32 v15, v19, v15
	;; [unrolled: 1-line block ×3, first 2 shown]
	v_add_f32_e32 v11, v11, v18
	v_add_f32_e32 v11, v11, v15
	;; [unrolled: 1-line block ×3, first 2 shown]
	v_sub_f32_e32 v17, v15, v19
	v_sub_f32_e32 v11, v11, v17
	v_add_f32_e32 v17, v16, v15
	v_sub_f32_e32 v18, v17, v16
	v_sub_f32_e32 v19, v17, v18
	;; [unrolled: 1-line block ×4, first 2 shown]
	v_add_f32_e32 v15, v15, v16
	v_add_f32_e32 v16, v12, v11
	v_sub_f32_e32 v18, v16, v12
	v_sub_f32_e32 v19, v16, v18
	;; [unrolled: 1-line block ×4, first 2 shown]
	v_add_f32_e32 v11, v11, v12
	v_add_f32_e32 v12, v16, v15
	;; [unrolled: 1-line block ×3, first 2 shown]
	v_sub_f32_e32 v16, v15, v17
	v_sub_f32_e32 v12, v12, v16
	v_add_f32_e32 v11, v11, v12
	v_add_f32_e32 v12, v15, v11
	v_sub_f32_e32 v15, v12, v15
	v_sub_f32_e32 v11, v11, v15
	v_mul_f32_e32 v15, v13, v12
	v_fma_f32 v12, v13, v12, -v15
	v_fmac_f32_e32 v12, v13, v11
	v_add_f32_e32 v11, v15, v12
	v_cmp_class_f32_e64 vcc, v15, s23
	v_sub_f32_e32 v16, v11, v15
	v_cndmask_b32_e32 v11, v11, v15, vcc
	v_cmp_eq_f32_e32 vcc, s25, v11
	v_cndmask_b32_e32 v15, 0, v8, vcc
	v_sub_f32_e32 v12, v12, v16
	v_sub_f32_e32 v16, v11, v15
	v_mul_f32_e32 v17, 0x3fb8aa3b, v16
	v_fma_f32 v18, v16, s26, -v17
	v_rndne_f32_e32 v19, v17
	v_fmac_f32_e32 v18, 0x32a5705f, v16
	v_sub_f32_e32 v17, v17, v19
	v_add_f32_e32 v17, v17, v18
	v_exp_f32_e32 v17, v17
	v_cvt_i32_f32_e32 v18, v19
	v_cmp_neq_f32_e64 vcc, |v11|, s24
	v_cndmask_b32_e32 v11, 0, v12, vcc
	v_cmp_ngt_f32_e32 vcc, s27, v16
	v_ldexp_f32 v12, v17, v18
	v_cndmask_b32_e32 v12, 0, v12, vcc
	v_cmp_nlt_f32_e32 vcc, s25, v16
	v_add_f32_e32 v11, v15, v11
	v_cndmask_b32_e32 v12, v9, v12, vcc
	v_fma_f32 v11, v12, v11, v12
	v_cmp_class_f32_e64 vcc, v12, s23
	v_cndmask_b32_e32 v11, v11, v12, vcc
	v_trunc_f32_e32 v12, v13
	v_cmp_eq_f32_e32 vcc, v12, v13
	v_mul_f32_e32 v12, 0.5, v13
	v_trunc_f32_e32 v15, v12
	v_cmp_neq_f32_e64 s[0:1], v15, v12
	s_and_b64 s[0:1], vcc, s[0:1]
	v_cndmask_b32_e64 v12, 1.0, v14, s[0:1]
	v_bfi_b32 v11, s28, v11, v12
	v_cndmask_b32_e32 v12, v7, v11, vcc
	v_cmp_gt_f32_e32 vcc, 0, v14
	v_cndmask_b32_e32 v11, v11, v12, vcc
	v_cndmask_b32_e64 v12, v9, 0, s[2:3]
	v_cmp_neq_f32_e64 vcc, |v14|, 1.0
	v_cndmask_b32_e32 v12, 1.0, v12, vcc
	v_cmp_class_f32_e64 vcc, v13, s23
	v_cndmask_b32_e32 v11, v11, v12, vcc
	v_cmp_eq_f32_e32 vcc, 0, v14
	v_cmp_gt_f32_e64 s[2:3], 0, v13
	s_xor_b64 s[2:3], s[2:3], vcc
	v_cndmask_b32_e64 v12, v9, 0, s[2:3]
	v_cndmask_b32_e64 v15, 0, v14, s[0:1]
	v_bfi_b32 v12, s28, v12, v15
	s_or_b64 vcc, vcc, s[30:31]
	v_cndmask_b32_e32 v11, v11, v12, vcc
	v_cmp_o_f32_e32 vcc, v14, v13
	v_cndmask_b32_e32 v11, v7, v11, vcc
	v_bfe_u32 v12, v11, 16, 1
	v_add3_u32 v12, v11, v12, s20
	v_lshrrev_b32_e32 v12, 16, v12
	v_cmp_o_f32_e32 vcc, v11, v11
	v_cndmask_b32_e32 v11, v10, v12, vcc
	global_store_short v[4:5], v11, off
	v_mov_b32_e32 v11, s5
	v_add_co_u32_e32 v0, vcc, s4, v0
	v_addc_co_u32_e32 v1, vcc, v1, v11, vcc
	v_subrev_co_u32_e32 v2, vcc, s4, v2
	v_subb_co_u32_e32 v3, vcc, v3, v11, vcc
	v_cmp_le_i64_e32 vcc, s[12:13], v[0:1]
	v_mov_b32_e32 v11, s11
	s_or_b64 s[14:15], vcc, s[14:15]
	v_add_co_u32_e32 v4, vcc, s10, v4
	v_addc_co_u32_e32 v5, vcc, v5, v11, vcc
	s_andn2_b64 exec, exec, s[14:15]
	s_cbranch_execz .LBB45_7
.LBB45_3:                               ; =>This Inner Loop Header: Depth=1
	v_cmp_le_i64_e32 vcc, s[8:9], v[0:1]
                                        ; implicit-def: $vgpr11
	s_and_saveexec_b64 s[0:1], vcc
	s_xor_b64 s[0:1], exec, s[0:1]
	s_cbranch_execz .LBB45_5
; %bb.4:                                ;   in Loop: Header=BB45_3 Depth=1
	v_xor_b32_e32 v12, v2, v3
	v_ffbh_i32_e32 v11, v3
	v_ashrrev_i32_e32 v12, 31, v12
	v_add_u32_e32 v11, -1, v11
	v_add_u32_e32 v12, 32, v12
	v_min_u32_e32 v13, v11, v12
	v_lshlrev_b64 v[11:12], v13, v[2:3]
	v_min_u32_e32 v11, 1, v11
	v_or_b32_e32 v11, v12, v11
	v_cvt_f32_i32_e32 v11, v11
	v_sub_u32_e32 v12, 32, v13
	v_ldexp_f32 v11, v11, v12
	v_bfe_u32 v12, v11, 16, 1
	v_add3_u32 v11, v11, v12, s20
	v_and_b32_e32 v11, 0xffff0000, v11
	v_mul_f32_e32 v11, s16, v11
	v_bfe_u32 v12, v11, 16, 1
	v_add3_u32 v12, v11, v12, s20
	v_and_b32_e32 v12, 0xffff0000, v12
	v_cmp_o_f32_e32 vcc, v11, v11
	v_cndmask_b32_e32 v11, v7, v12, vcc
	v_sub_f32_e32 v11, s17, v11
.LBB45_5:                               ;   in Loop: Header=BB45_3 Depth=1
	s_andn2_saveexec_b64 s[0:1], s[0:1]
	s_cbranch_execz .LBB45_2
; %bb.6:                                ;   in Loop: Header=BB45_3 Depth=1
	v_ffbh_u32_e32 v11, v1
	v_min_u32_e32 v13, 32, v11
	v_lshlrev_b64 v[11:12], v13, v[0:1]
	v_min_u32_e32 v11, 1, v11
	v_or_b32_e32 v11, v12, v11
	v_cvt_f32_u32_e32 v11, v11
	v_sub_u32_e32 v12, 32, v13
	v_ldexp_f32 v11, v11, v12
	v_bfe_u32 v12, v11, 16, 1
	v_add3_u32 v11, v11, v12, s20
	v_and_b32_e32 v11, 0xffff0000, v11
	v_mul_f32_e32 v11, s16, v11
	v_bfe_u32 v12, v11, 16, 1
	v_add3_u32 v12, v11, v12, s20
	v_and_b32_e32 v12, 0xffff0000, v12
	v_cmp_o_f32_e32 vcc, v11, v11
	v_cndmask_b32_e32 v11, v7, v12, vcc
	v_add_f32_e32 v11, s18, v11
	s_branch .LBB45_2
.LBB45_7:
	s_endpgm
	.section	.rodata,"a",@progbits
	.p2align	6, 0x0
	.amdhsa_kernel _ZN12_GLOBAL__N_141elementwise_kernel_with_index_grid_strideIlZZZN2at6native17logspace_cuda_outERKN3c106ScalarES6_ldRNS1_6TensorEENKUlvE0_clEvENKUlvE4_clEvEUllE_EEvT_T0_PN15function_traitsISD_E11result_typeE
		.amdhsa_group_segment_fixed_size 0
		.amdhsa_private_segment_fixed_size 0
		.amdhsa_kernarg_size 304
		.amdhsa_user_sgpr_count 6
		.amdhsa_user_sgpr_private_segment_buffer 1
		.amdhsa_user_sgpr_dispatch_ptr 0
		.amdhsa_user_sgpr_queue_ptr 0
		.amdhsa_user_sgpr_kernarg_segment_ptr 1
		.amdhsa_user_sgpr_dispatch_id 0
		.amdhsa_user_sgpr_flat_scratch_init 0
		.amdhsa_user_sgpr_private_segment_size 0
		.amdhsa_uses_dynamic_stack 0
		.amdhsa_system_sgpr_private_segment_wavefront_offset 0
		.amdhsa_system_sgpr_workgroup_id_x 1
		.amdhsa_system_sgpr_workgroup_id_y 0
		.amdhsa_system_sgpr_workgroup_id_z 0
		.amdhsa_system_sgpr_workgroup_info 0
		.amdhsa_system_vgpr_workitem_id 0
		.amdhsa_next_free_vgpr 23
		.amdhsa_next_free_sgpr 32
		.amdhsa_reserve_vcc 1
		.amdhsa_reserve_flat_scratch 0
		.amdhsa_float_round_mode_32 0
		.amdhsa_float_round_mode_16_64 0
		.amdhsa_float_denorm_mode_32 3
		.amdhsa_float_denorm_mode_16_64 3
		.amdhsa_dx10_clamp 1
		.amdhsa_ieee_mode 1
		.amdhsa_fp16_overflow 0
		.amdhsa_exception_fp_ieee_invalid_op 0
		.amdhsa_exception_fp_denorm_src 0
		.amdhsa_exception_fp_ieee_div_zero 0
		.amdhsa_exception_fp_ieee_overflow 0
		.amdhsa_exception_fp_ieee_underflow 0
		.amdhsa_exception_fp_ieee_inexact 0
		.amdhsa_exception_int_div_zero 0
	.end_amdhsa_kernel
	.section	.text._ZN12_GLOBAL__N_141elementwise_kernel_with_index_grid_strideIlZZZN2at6native17logspace_cuda_outERKN3c106ScalarES6_ldRNS1_6TensorEENKUlvE0_clEvENKUlvE4_clEvEUllE_EEvT_T0_PN15function_traitsISD_E11result_typeE,"axG",@progbits,_ZN12_GLOBAL__N_141elementwise_kernel_with_index_grid_strideIlZZZN2at6native17logspace_cuda_outERKN3c106ScalarES6_ldRNS1_6TensorEENKUlvE0_clEvENKUlvE4_clEvEUllE_EEvT_T0_PN15function_traitsISD_E11result_typeE,comdat
.Lfunc_end45:
	.size	_ZN12_GLOBAL__N_141elementwise_kernel_with_index_grid_strideIlZZZN2at6native17logspace_cuda_outERKN3c106ScalarES6_ldRNS1_6TensorEENKUlvE0_clEvENKUlvE4_clEvEUllE_EEvT_T0_PN15function_traitsISD_E11result_typeE, .Lfunc_end45-_ZN12_GLOBAL__N_141elementwise_kernel_with_index_grid_strideIlZZZN2at6native17logspace_cuda_outERKN3c106ScalarES6_ldRNS1_6TensorEENKUlvE0_clEvENKUlvE4_clEvEUllE_EEvT_T0_PN15function_traitsISD_E11result_typeE
                                        ; -- End function
	.set _ZN12_GLOBAL__N_141elementwise_kernel_with_index_grid_strideIlZZZN2at6native17logspace_cuda_outERKN3c106ScalarES6_ldRNS1_6TensorEENKUlvE0_clEvENKUlvE4_clEvEUllE_EEvT_T0_PN15function_traitsISD_E11result_typeE.num_vgpr, 23
	.set _ZN12_GLOBAL__N_141elementwise_kernel_with_index_grid_strideIlZZZN2at6native17logspace_cuda_outERKN3c106ScalarES6_ldRNS1_6TensorEENKUlvE0_clEvENKUlvE4_clEvEUllE_EEvT_T0_PN15function_traitsISD_E11result_typeE.num_agpr, 0
	.set _ZN12_GLOBAL__N_141elementwise_kernel_with_index_grid_strideIlZZZN2at6native17logspace_cuda_outERKN3c106ScalarES6_ldRNS1_6TensorEENKUlvE0_clEvENKUlvE4_clEvEUllE_EEvT_T0_PN15function_traitsISD_E11result_typeE.numbered_sgpr, 32
	.set _ZN12_GLOBAL__N_141elementwise_kernel_with_index_grid_strideIlZZZN2at6native17logspace_cuda_outERKN3c106ScalarES6_ldRNS1_6TensorEENKUlvE0_clEvENKUlvE4_clEvEUllE_EEvT_T0_PN15function_traitsISD_E11result_typeE.num_named_barrier, 0
	.set _ZN12_GLOBAL__N_141elementwise_kernel_with_index_grid_strideIlZZZN2at6native17logspace_cuda_outERKN3c106ScalarES6_ldRNS1_6TensorEENKUlvE0_clEvENKUlvE4_clEvEUllE_EEvT_T0_PN15function_traitsISD_E11result_typeE.private_seg_size, 0
	.set _ZN12_GLOBAL__N_141elementwise_kernel_with_index_grid_strideIlZZZN2at6native17logspace_cuda_outERKN3c106ScalarES6_ldRNS1_6TensorEENKUlvE0_clEvENKUlvE4_clEvEUllE_EEvT_T0_PN15function_traitsISD_E11result_typeE.uses_vcc, 1
	.set _ZN12_GLOBAL__N_141elementwise_kernel_with_index_grid_strideIlZZZN2at6native17logspace_cuda_outERKN3c106ScalarES6_ldRNS1_6TensorEENKUlvE0_clEvENKUlvE4_clEvEUllE_EEvT_T0_PN15function_traitsISD_E11result_typeE.uses_flat_scratch, 0
	.set _ZN12_GLOBAL__N_141elementwise_kernel_with_index_grid_strideIlZZZN2at6native17logspace_cuda_outERKN3c106ScalarES6_ldRNS1_6TensorEENKUlvE0_clEvENKUlvE4_clEvEUllE_EEvT_T0_PN15function_traitsISD_E11result_typeE.has_dyn_sized_stack, 0
	.set _ZN12_GLOBAL__N_141elementwise_kernel_with_index_grid_strideIlZZZN2at6native17logspace_cuda_outERKN3c106ScalarES6_ldRNS1_6TensorEENKUlvE0_clEvENKUlvE4_clEvEUllE_EEvT_T0_PN15function_traitsISD_E11result_typeE.has_recursion, 0
	.set _ZN12_GLOBAL__N_141elementwise_kernel_with_index_grid_strideIlZZZN2at6native17logspace_cuda_outERKN3c106ScalarES6_ldRNS1_6TensorEENKUlvE0_clEvENKUlvE4_clEvEUllE_EEvT_T0_PN15function_traitsISD_E11result_typeE.has_indirect_call, 0
	.section	.AMDGPU.csdata,"",@progbits
; Kernel info:
; codeLenInByte = 1496
; TotalNumSgprs: 36
; NumVgprs: 23
; ScratchSize: 0
; MemoryBound: 0
; FloatMode: 240
; IeeeMode: 1
; LDSByteSize: 0 bytes/workgroup (compile time only)
; SGPRBlocks: 4
; VGPRBlocks: 5
; NumSGPRsForWavesPerEU: 36
; NumVGPRsForWavesPerEU: 23
; Occupancy: 10
; WaveLimiterHint : 0
; COMPUTE_PGM_RSRC2:SCRATCH_EN: 0
; COMPUTE_PGM_RSRC2:USER_SGPR: 6
; COMPUTE_PGM_RSRC2:TRAP_HANDLER: 0
; COMPUTE_PGM_RSRC2:TGID_X_EN: 1
; COMPUTE_PGM_RSRC2:TGID_Y_EN: 0
; COMPUTE_PGM_RSRC2:TGID_Z_EN: 0
; COMPUTE_PGM_RSRC2:TIDIG_COMP_CNT: 0
	.section	.text._ZN12_GLOBAL__N_141elementwise_kernel_with_index_grid_strideIiZZZN2at6native14range_cuda_outERKN3c106ScalarES6_S6_RNS1_6TensorEENKUlvE_clEvENKUlvE_clEvEUllE_EEvT_T0_PN15function_traitsISD_E11result_typeE,"axG",@progbits,_ZN12_GLOBAL__N_141elementwise_kernel_with_index_grid_strideIiZZZN2at6native14range_cuda_outERKN3c106ScalarES6_S6_RNS1_6TensorEENKUlvE_clEvENKUlvE_clEvEUllE_EEvT_T0_PN15function_traitsISD_E11result_typeE,comdat
	.globl	_ZN12_GLOBAL__N_141elementwise_kernel_with_index_grid_strideIiZZZN2at6native14range_cuda_outERKN3c106ScalarES6_S6_RNS1_6TensorEENKUlvE_clEvENKUlvE_clEvEUllE_EEvT_T0_PN15function_traitsISD_E11result_typeE ; -- Begin function _ZN12_GLOBAL__N_141elementwise_kernel_with_index_grid_strideIiZZZN2at6native14range_cuda_outERKN3c106ScalarES6_S6_RNS1_6TensorEENKUlvE_clEvENKUlvE_clEvEUllE_EEvT_T0_PN15function_traitsISD_E11result_typeE
	.p2align	8
	.type	_ZN12_GLOBAL__N_141elementwise_kernel_with_index_grid_strideIiZZZN2at6native14range_cuda_outERKN3c106ScalarES6_S6_RNS1_6TensorEENKUlvE_clEvENKUlvE_clEvEUllE_EEvT_T0_PN15function_traitsISD_E11result_typeE,@function
_ZN12_GLOBAL__N_141elementwise_kernel_with_index_grid_strideIiZZZN2at6native14range_cuda_outERKN3c106ScalarES6_S6_RNS1_6TensorEENKUlvE_clEvENKUlvE_clEvEUllE_EEvT_T0_PN15function_traitsISD_E11result_typeE: ; @_ZN12_GLOBAL__N_141elementwise_kernel_with_index_grid_strideIiZZZN2at6native14range_cuda_outERKN3c106ScalarES6_S6_RNS1_6TensorEENKUlvE_clEvENKUlvE_clEvEUllE_EEvT_T0_PN15function_traitsISD_E11result_typeE
; %bb.0:
	s_load_dword s2, s[4:5], 0x2c
	s_load_dword s7, s[4:5], 0x0
	s_add_u32 s0, s4, 32
	s_addc_u32 s1, s5, 0
	s_waitcnt lgkmcnt(0)
	s_and_b32 s2, s2, 0xffff
	s_mul_i32 s3, s6, s2
	v_add_u32_e32 v1, s3, v0
	v_cmp_gt_i32_e32 vcc, s7, v1
	s_and_saveexec_b64 s[8:9], vcc
	s_cbranch_execz .LBB46_8
; %bb.1:
	s_load_dword s0, s[0:1], 0x0
	s_waitcnt lgkmcnt(0)
	s_mul_i32 s12, s0, s2
	v_cvt_f32_u32_e32 v2, s12
	s_sub_i32 s1, 0, s12
	s_add_i32 s0, s6, s0
	s_mul_i32 s0, s0, s2
	v_rcp_iflag_f32_e32 v2, v2
	v_add_u32_e32 v4, s0, v0
	v_mov_b32_e32 v5, s0
	v_cmp_gt_i32_e32 vcc, s7, v4
	v_mul_f32_e32 v2, 0x4f7ffffe, v2
	v_cvt_u32_f32_e32 v2, v2
	v_max_i32_e32 v6, s7, v4
	s_load_dwordx4 s[8:11], s[4:5], 0x8
	s_load_dwordx2 s[2:3], s[4:5], 0x18
	s_mov_b64 s[4:5], -1
	v_mul_lo_u32 v3, s1, v2
	v_addc_co_u32_e64 v0, s[0:1], v0, v5, vcc
	v_sub_u32_e32 v0, v6, v0
	v_mul_hi_u32 v3, v2, v3
	v_add_u32_e32 v2, v2, v3
	v_mul_hi_u32 v2, v0, v2
	v_mul_lo_u32 v3, v2, s12
	v_add_u32_e32 v4, 1, v2
	v_sub_u32_e32 v0, v0, v3
	v_cmp_le_u32_e64 s[0:1], s12, v0
	v_subrev_u32_e32 v3, s12, v0
	v_cndmask_b32_e64 v2, v2, v4, s[0:1]
	v_cndmask_b32_e64 v0, v0, v3, s[0:1]
	v_add_u32_e32 v3, 1, v2
	v_cmp_le_u32_e64 s[0:1], s12, v0
	v_cndmask_b32_e64 v0, v2, v3, s[0:1]
	v_addc_co_u32_e32 v0, vcc, 1, v0, vcc
	v_cmp_lt_u32_e32 vcc, 3, v0
	s_and_saveexec_b64 s[0:1], vcc
	s_cbranch_execz .LBB46_5
; %bb.2:
	v_add_u32_e32 v2, s12, v1
	v_mad_u64_u32 v[4:5], s[4:5], s12, 3, v[1:2]
	v_lshl_add_u32 v3, s12, 1, v1
	v_and_b32_e32 v14, -4, v0
	s_lshl_b32 s16, s12, 2
	v_mov_b32_e32 v5, v4
	s_waitcnt lgkmcnt(0)
	s_mov_b32 s6, s10
	s_mov_b32 s13, s10
	;; [unrolled: 1-line block ×7, first 2 shown]
	s_mov_b64 s[4:5], 0
	v_mov_b32_e32 v6, s8
	v_mov_b32_e32 v7, s9
	;; [unrolled: 1-line block ×13, first 2 shown]
.LBB46_3:                               ; =>This Inner Loop Header: Depth=1
	v_mad_u64_u32 v[17:18], s[20:21], s13, v3, v[8:9]
	v_mad_u64_u32 v[18:19], s[20:21], s6, v2, v[6:7]
	v_lshlrev_b16_e32 v17, 8, v17
	v_ashrrev_i32_e32 v21, 31, v2
	v_or_b32_sdwa v22, v18, v17 dst_sel:DWORD dst_unused:UNUSED_PAD src0_sel:BYTE_0 src1_sel:DWORD
	v_add_co_u32_e32 v17, vcc, s2, v2
	v_addc_co_u32_e32 v18, vcc, v15, v21, vcc
	v_and_b32_e32 v22, 0xffff, v22
	v_ashrrev_i32_e32 v19, 31, v3
	v_mov_b32_e32 v21, s3
	global_store_byte v[17:18], v22, off
	v_add_co_u32_e32 v17, vcc, s2, v3
	v_addc_co_u32_e32 v18, vcc, v21, v19, vcc
	v_lshrrev_b32_e32 v22, 8, v22
	v_ashrrev_i32_e32 v19, 31, v4
	global_store_byte v[17:18], v22, off
	v_add_co_u32_e32 v17, vcc, s2, v4
	v_addc_co_u32_e32 v18, vcc, v21, v19, vcc
	v_ashrrev_i32_e32 v20, 31, v5
	v_add_co_u32_e32 v19, vcc, s2, v5
	v_addc_co_u32_e32 v20, vcc, v21, v20, vcc
	v_mad_u64_u32 v[21:22], s[20:21], s15, v5, v[12:13]
	v_add_u32_e32 v16, -4, v16
	v_cmp_eq_u32_e32 vcc, 0, v16
	v_lshlrev_b16_e32 v23, 8, v21
	v_mad_u64_u32 v[21:22], s[20:21], s14, v4, v[10:11]
	v_add_u32_e32 v5, s19, v5
	v_add_u32_e32 v4, s18, v4
	v_or_b32_sdwa v21, v21, v23 dst_sel:DWORD dst_unused:UNUSED_PAD src0_sel:BYTE_0 src1_sel:DWORD
	v_add_u32_e32 v3, s17, v3
	v_add_u32_e32 v2, s16, v2
	s_or_b64 s[4:5], vcc, s[4:5]
	v_lshrrev_b32_e32 v22, 8, v21
	global_store_byte v[17:18], v21, off
	global_store_byte v[19:20], v22, off
	s_andn2_b64 exec, exec, s[4:5]
	s_cbranch_execnz .LBB46_3
; %bb.4:
	s_or_b64 exec, exec, s[4:5]
	v_mad_u64_u32 v[1:2], s[4:5], v14, s12, v[1:2]
	v_cmp_ne_u32_e32 vcc, v0, v14
	s_orn2_b64 s[4:5], vcc, exec
.LBB46_5:
	s_or_b64 exec, exec, s[0:1]
	s_and_b64 exec, exec, s[4:5]
	s_cbranch_execz .LBB46_8
; %bb.6:
	s_waitcnt lgkmcnt(0)
	v_mov_b32_e32 v2, s8
	v_mov_b32_e32 v3, s9
	v_ashrrev_i32_e32 v0, 31, v1
	v_mad_u64_u32 v[2:3], s[0:1], s10, v1, v[2:3]
	v_mul_lo_u32 v4, s11, v1
	v_mul_lo_u32 v5, s10, v0
	s_ashr_i32 s0, s12, 31
	s_mul_hi_u32 s1, s10, s12
	s_mul_i32 s4, s10, s0
	s_add_i32 s1, s1, s4
	s_mul_i32 s4, s11, s12
	s_add_i32 s1, s1, s4
	v_add3_u32 v3, v4, v3, v5
	s_mul_i32 s6, s10, s12
	s_mov_b64 s[4:5], 0
	v_mov_b32_e32 v4, s3
	v_mov_b32_e32 v5, s0
	;; [unrolled: 1-line block ×3, first 2 shown]
.LBB46_7:                               ; =>This Inner Loop Header: Depth=1
	v_add_co_u32_e32 v7, vcc, s2, v1
	v_addc_co_u32_e32 v8, vcc, v4, v0, vcc
	v_add_co_u32_e32 v1, vcc, s12, v1
	v_addc_co_u32_e32 v0, vcc, v0, v5, vcc
	global_store_byte v[7:8], v2, off
	v_add_co_u32_e32 v2, vcc, s6, v2
	v_cmp_le_i32_e64 s[0:1], s7, v1
	s_or_b64 s[4:5], s[0:1], s[4:5]
	v_addc_co_u32_e32 v3, vcc, v3, v6, vcc
	s_andn2_b64 exec, exec, s[4:5]
	s_cbranch_execnz .LBB46_7
.LBB46_8:
	s_endpgm
	.section	.rodata,"a",@progbits
	.p2align	6, 0x0
	.amdhsa_kernel _ZN12_GLOBAL__N_141elementwise_kernel_with_index_grid_strideIiZZZN2at6native14range_cuda_outERKN3c106ScalarES6_S6_RNS1_6TensorEENKUlvE_clEvENKUlvE_clEvEUllE_EEvT_T0_PN15function_traitsISD_E11result_typeE
		.amdhsa_group_segment_fixed_size 0
		.amdhsa_private_segment_fixed_size 0
		.amdhsa_kernarg_size 288
		.amdhsa_user_sgpr_count 6
		.amdhsa_user_sgpr_private_segment_buffer 1
		.amdhsa_user_sgpr_dispatch_ptr 0
		.amdhsa_user_sgpr_queue_ptr 0
		.amdhsa_user_sgpr_kernarg_segment_ptr 1
		.amdhsa_user_sgpr_dispatch_id 0
		.amdhsa_user_sgpr_flat_scratch_init 0
		.amdhsa_user_sgpr_private_segment_size 0
		.amdhsa_uses_dynamic_stack 0
		.amdhsa_system_sgpr_private_segment_wavefront_offset 0
		.amdhsa_system_sgpr_workgroup_id_x 1
		.amdhsa_system_sgpr_workgroup_id_y 0
		.amdhsa_system_sgpr_workgroup_id_z 0
		.amdhsa_system_sgpr_workgroup_info 0
		.amdhsa_system_vgpr_workitem_id 0
		.amdhsa_next_free_vgpr 24
		.amdhsa_next_free_sgpr 22
		.amdhsa_reserve_vcc 1
		.amdhsa_reserve_flat_scratch 0
		.amdhsa_float_round_mode_32 0
		.amdhsa_float_round_mode_16_64 0
		.amdhsa_float_denorm_mode_32 3
		.amdhsa_float_denorm_mode_16_64 3
		.amdhsa_dx10_clamp 1
		.amdhsa_ieee_mode 1
		.amdhsa_fp16_overflow 0
		.amdhsa_exception_fp_ieee_invalid_op 0
		.amdhsa_exception_fp_denorm_src 0
		.amdhsa_exception_fp_ieee_div_zero 0
		.amdhsa_exception_fp_ieee_overflow 0
		.amdhsa_exception_fp_ieee_underflow 0
		.amdhsa_exception_fp_ieee_inexact 0
		.amdhsa_exception_int_div_zero 0
	.end_amdhsa_kernel
	.section	.text._ZN12_GLOBAL__N_141elementwise_kernel_with_index_grid_strideIiZZZN2at6native14range_cuda_outERKN3c106ScalarES6_S6_RNS1_6TensorEENKUlvE_clEvENKUlvE_clEvEUllE_EEvT_T0_PN15function_traitsISD_E11result_typeE,"axG",@progbits,_ZN12_GLOBAL__N_141elementwise_kernel_with_index_grid_strideIiZZZN2at6native14range_cuda_outERKN3c106ScalarES6_S6_RNS1_6TensorEENKUlvE_clEvENKUlvE_clEvEUllE_EEvT_T0_PN15function_traitsISD_E11result_typeE,comdat
.Lfunc_end46:
	.size	_ZN12_GLOBAL__N_141elementwise_kernel_with_index_grid_strideIiZZZN2at6native14range_cuda_outERKN3c106ScalarES6_S6_RNS1_6TensorEENKUlvE_clEvENKUlvE_clEvEUllE_EEvT_T0_PN15function_traitsISD_E11result_typeE, .Lfunc_end46-_ZN12_GLOBAL__N_141elementwise_kernel_with_index_grid_strideIiZZZN2at6native14range_cuda_outERKN3c106ScalarES6_S6_RNS1_6TensorEENKUlvE_clEvENKUlvE_clEvEUllE_EEvT_T0_PN15function_traitsISD_E11result_typeE
                                        ; -- End function
	.set _ZN12_GLOBAL__N_141elementwise_kernel_with_index_grid_strideIiZZZN2at6native14range_cuda_outERKN3c106ScalarES6_S6_RNS1_6TensorEENKUlvE_clEvENKUlvE_clEvEUllE_EEvT_T0_PN15function_traitsISD_E11result_typeE.num_vgpr, 24
	.set _ZN12_GLOBAL__N_141elementwise_kernel_with_index_grid_strideIiZZZN2at6native14range_cuda_outERKN3c106ScalarES6_S6_RNS1_6TensorEENKUlvE_clEvENKUlvE_clEvEUllE_EEvT_T0_PN15function_traitsISD_E11result_typeE.num_agpr, 0
	.set _ZN12_GLOBAL__N_141elementwise_kernel_with_index_grid_strideIiZZZN2at6native14range_cuda_outERKN3c106ScalarES6_S6_RNS1_6TensorEENKUlvE_clEvENKUlvE_clEvEUllE_EEvT_T0_PN15function_traitsISD_E11result_typeE.numbered_sgpr, 22
	.set _ZN12_GLOBAL__N_141elementwise_kernel_with_index_grid_strideIiZZZN2at6native14range_cuda_outERKN3c106ScalarES6_S6_RNS1_6TensorEENKUlvE_clEvENKUlvE_clEvEUllE_EEvT_T0_PN15function_traitsISD_E11result_typeE.num_named_barrier, 0
	.set _ZN12_GLOBAL__N_141elementwise_kernel_with_index_grid_strideIiZZZN2at6native14range_cuda_outERKN3c106ScalarES6_S6_RNS1_6TensorEENKUlvE_clEvENKUlvE_clEvEUllE_EEvT_T0_PN15function_traitsISD_E11result_typeE.private_seg_size, 0
	.set _ZN12_GLOBAL__N_141elementwise_kernel_with_index_grid_strideIiZZZN2at6native14range_cuda_outERKN3c106ScalarES6_S6_RNS1_6TensorEENKUlvE_clEvENKUlvE_clEvEUllE_EEvT_T0_PN15function_traitsISD_E11result_typeE.uses_vcc, 1
	.set _ZN12_GLOBAL__N_141elementwise_kernel_with_index_grid_strideIiZZZN2at6native14range_cuda_outERKN3c106ScalarES6_S6_RNS1_6TensorEENKUlvE_clEvENKUlvE_clEvEUllE_EEvT_T0_PN15function_traitsISD_E11result_typeE.uses_flat_scratch, 0
	.set _ZN12_GLOBAL__N_141elementwise_kernel_with_index_grid_strideIiZZZN2at6native14range_cuda_outERKN3c106ScalarES6_S6_RNS1_6TensorEENKUlvE_clEvENKUlvE_clEvEUllE_EEvT_T0_PN15function_traitsISD_E11result_typeE.has_dyn_sized_stack, 0
	.set _ZN12_GLOBAL__N_141elementwise_kernel_with_index_grid_strideIiZZZN2at6native14range_cuda_outERKN3c106ScalarES6_S6_RNS1_6TensorEENKUlvE_clEvENKUlvE_clEvEUllE_EEvT_T0_PN15function_traitsISD_E11result_typeE.has_recursion, 0
	.set _ZN12_GLOBAL__N_141elementwise_kernel_with_index_grid_strideIiZZZN2at6native14range_cuda_outERKN3c106ScalarES6_S6_RNS1_6TensorEENKUlvE_clEvENKUlvE_clEvEUllE_EEvT_T0_PN15function_traitsISD_E11result_typeE.has_indirect_call, 0
	.section	.AMDGPU.csdata,"",@progbits
; Kernel info:
; codeLenInByte = 752
; TotalNumSgprs: 26
; NumVgprs: 24
; ScratchSize: 0
; MemoryBound: 0
; FloatMode: 240
; IeeeMode: 1
; LDSByteSize: 0 bytes/workgroup (compile time only)
; SGPRBlocks: 3
; VGPRBlocks: 5
; NumSGPRsForWavesPerEU: 26
; NumVGPRsForWavesPerEU: 24
; Occupancy: 10
; WaveLimiterHint : 0
; COMPUTE_PGM_RSRC2:SCRATCH_EN: 0
; COMPUTE_PGM_RSRC2:USER_SGPR: 6
; COMPUTE_PGM_RSRC2:TRAP_HANDLER: 0
; COMPUTE_PGM_RSRC2:TGID_X_EN: 1
; COMPUTE_PGM_RSRC2:TGID_Y_EN: 0
; COMPUTE_PGM_RSRC2:TGID_Z_EN: 0
; COMPUTE_PGM_RSRC2:TIDIG_COMP_CNT: 0
	.section	.text._ZN12_GLOBAL__N_141elementwise_kernel_with_index_grid_strideIlZZZN2at6native14range_cuda_outERKN3c106ScalarES6_S6_RNS1_6TensorEENKUlvE_clEvENKUlvE_clEvEUllE_EEvT_T0_PN15function_traitsISD_E11result_typeE,"axG",@progbits,_ZN12_GLOBAL__N_141elementwise_kernel_with_index_grid_strideIlZZZN2at6native14range_cuda_outERKN3c106ScalarES6_S6_RNS1_6TensorEENKUlvE_clEvENKUlvE_clEvEUllE_EEvT_T0_PN15function_traitsISD_E11result_typeE,comdat
	.globl	_ZN12_GLOBAL__N_141elementwise_kernel_with_index_grid_strideIlZZZN2at6native14range_cuda_outERKN3c106ScalarES6_S6_RNS1_6TensorEENKUlvE_clEvENKUlvE_clEvEUllE_EEvT_T0_PN15function_traitsISD_E11result_typeE ; -- Begin function _ZN12_GLOBAL__N_141elementwise_kernel_with_index_grid_strideIlZZZN2at6native14range_cuda_outERKN3c106ScalarES6_S6_RNS1_6TensorEENKUlvE_clEvENKUlvE_clEvEUllE_EEvT_T0_PN15function_traitsISD_E11result_typeE
	.p2align	8
	.type	_ZN12_GLOBAL__N_141elementwise_kernel_with_index_grid_strideIlZZZN2at6native14range_cuda_outERKN3c106ScalarES6_S6_RNS1_6TensorEENKUlvE_clEvENKUlvE_clEvEUllE_EEvT_T0_PN15function_traitsISD_E11result_typeE,@function
_ZN12_GLOBAL__N_141elementwise_kernel_with_index_grid_strideIlZZZN2at6native14range_cuda_outERKN3c106ScalarES6_S6_RNS1_6TensorEENKUlvE_clEvENKUlvE_clEvEUllE_EEvT_T0_PN15function_traitsISD_E11result_typeE: ; @_ZN12_GLOBAL__N_141elementwise_kernel_with_index_grid_strideIlZZZN2at6native14range_cuda_outERKN3c106ScalarES6_S6_RNS1_6TensorEENKUlvE_clEvENKUlvE_clEvEUllE_EEvT_T0_PN15function_traitsISD_E11result_typeE
; %bb.0:
	s_load_dword s2, s[4:5], 0x2c
	s_load_dwordx8 s[8:15], s[4:5], 0x0
	s_add_u32 s0, s4, 32
	s_addc_u32 s1, s5, 0
	v_mov_b32_e32 v3, 0
	s_waitcnt lgkmcnt(0)
	s_and_b32 s20, s2, 0xffff
	s_mul_hi_u32 s21, s20, s6
	s_mul_i32 s22, s20, s6
	v_mov_b32_e32 v2, s21
	v_add_co_u32_e32 v1, vcc, s22, v0
	v_addc_co_u32_e32 v2, vcc, 0, v2, vcc
	v_cmp_gt_i64_e32 vcc, s[8:9], v[1:2]
	s_and_saveexec_b64 s[2:3], vcc
	s_cbranch_execz .LBB47_12
; %bb.1:
	s_load_dword s4, s[0:1], 0x0
	v_mov_b32_e32 v5, s8
	s_mov_b32 s5, 0
	s_waitcnt lgkmcnt(0)
	s_add_u32 s0, s6, s4
	s_addc_u32 s1, 0, 0
	s_mul_hi_u32 s2, s0, s20
	s_mul_i32 s1, s1, s20
	s_mul_i32 s23, s0, s20
	s_add_i32 s24, s2, s1
	v_mov_b32_e32 v4, s24
	v_add_co_u32_e32 v6, vcc, s23, v0
	v_addc_co_u32_e32 v7, vcc, 0, v4, vcc
	v_cmp_gt_i64_e32 vcc, s[8:9], v[6:7]
	v_mov_b32_e32 v4, s9
	v_cndmask_b32_e32 v8, v6, v5, vcc
	v_cndmask_b32_e64 v5, 0, 1, vcc
	v_cndmask_b32_e32 v4, v7, v4, vcc
	v_add_co_u32_e32 v6, vcc, v6, v5
	v_addc_co_u32_e32 v7, vcc, 0, v7, vcc
	v_sub_co_u32_e32 v6, vcc, v8, v6
	s_mul_hi_u32 s3, s20, s4
	v_subb_co_u32_e32 v7, vcc, v4, v7, vcc
	v_or_b32_e32 v4, s3, v7
	v_cmp_ne_u64_e32 vcc, 0, v[3:4]
	s_mul_i32 s2, s20, s4
                                        ; implicit-def: $vgpr3_vgpr4
	s_and_saveexec_b64 s[0:1], vcc
	s_xor_b64 s[16:17], exec, s[0:1]
	s_cbranch_execz .LBB47_3
; %bb.2:
	v_cvt_f32_u32_e32 v3, s2
	v_cvt_f32_u32_e32 v4, s3
	s_sub_u32 s7, 0, s2
	s_subb_u32 s18, 0, s3
	v_madmk_f32 v3, v4, 0x4f800000, v3
	v_rcp_f32_e32 v3, v3
	v_mul_f32_e32 v3, 0x5f7ffffc, v3
	v_mul_f32_e32 v4, 0x2f800000, v3
	v_trunc_f32_e32 v4, v4
	v_madmk_f32 v3, v4, 0xcf800000, v3
	v_cvt_u32_f32_e32 v4, v4
	v_cvt_u32_f32_e32 v3, v3
	v_readfirstlane_b32 s19, v4
	v_readfirstlane_b32 s0, v3
	s_mul_i32 s1, s7, s19
	s_mul_hi_u32 s26, s7, s0
	s_mul_i32 s25, s18, s0
	s_add_i32 s1, s26, s1
	s_mul_i32 s27, s7, s0
	s_add_i32 s1, s1, s25
	s_mul_i32 s26, s0, s1
	s_mul_hi_u32 s28, s0, s27
	s_mul_hi_u32 s25, s0, s1
	s_add_u32 s26, s28, s26
	s_addc_u32 s25, 0, s25
	s_mul_hi_u32 s29, s19, s27
	s_mul_i32 s27, s19, s27
	s_add_u32 s26, s26, s27
	s_mul_hi_u32 s28, s19, s1
	s_addc_u32 s25, s25, s29
	s_addc_u32 s26, s28, 0
	s_mul_i32 s1, s19, s1
	s_add_u32 s1, s25, s1
	s_addc_u32 s25, 0, s26
	s_add_u32 s26, s0, s1
	s_cselect_b64 s[0:1], -1, 0
	s_cmp_lg_u64 s[0:1], 0
	s_addc_u32 s19, s19, s25
	s_mul_i32 s0, s7, s19
	s_mul_hi_u32 s1, s7, s26
	s_add_i32 s0, s1, s0
	s_mul_i32 s18, s18, s26
	s_add_i32 s0, s0, s18
	s_mul_i32 s7, s7, s26
	s_mul_hi_u32 s18, s19, s7
	s_mul_i32 s25, s19, s7
	s_mul_i32 s28, s26, s0
	s_mul_hi_u32 s7, s26, s7
	s_mul_hi_u32 s27, s26, s0
	s_add_u32 s7, s7, s28
	s_addc_u32 s27, 0, s27
	s_add_u32 s7, s7, s25
	s_mul_hi_u32 s1, s19, s0
	s_addc_u32 s7, s27, s18
	s_addc_u32 s1, s1, 0
	s_mul_i32 s0, s19, s0
	s_add_u32 s0, s7, s0
	s_addc_u32 s7, 0, s1
	s_add_u32 s18, s26, s0
	s_cselect_b64 s[0:1], -1, 0
	s_cmp_lg_u64 s[0:1], 0
	s_addc_u32 s7, s19, s7
	v_mad_u64_u32 v[3:4], s[0:1], v6, s7, 0
	v_mul_hi_u32 v8, v6, s18
	v_add_co_u32_e32 v10, vcc, v8, v3
	v_addc_co_u32_e32 v11, vcc, 0, v4, vcc
	v_mad_u64_u32 v[3:4], s[0:1], v7, s18, 0
	v_mad_u64_u32 v[8:9], s[0:1], v7, s7, 0
	v_add_co_u32_e32 v3, vcc, v10, v3
	v_addc_co_u32_e32 v3, vcc, v11, v4, vcc
	v_addc_co_u32_e32 v4, vcc, 0, v9, vcc
	v_add_co_u32_e32 v8, vcc, v3, v8
	v_addc_co_u32_e32 v9, vcc, 0, v4, vcc
	v_mul_lo_u32 v10, s3, v8
	v_mul_lo_u32 v11, s2, v9
	v_mad_u64_u32 v[3:4], s[0:1], s2, v8, 0
	v_add3_u32 v4, v4, v11, v10
	v_sub_u32_e32 v10, v7, v4
	v_mov_b32_e32 v11, s3
	v_sub_co_u32_e32 v3, vcc, v6, v3
	v_subb_co_u32_e64 v6, s[0:1], v10, v11, vcc
	v_subrev_co_u32_e64 v10, s[0:1], s2, v3
	v_subbrev_co_u32_e64 v6, s[0:1], 0, v6, s[0:1]
	v_cmp_le_u32_e64 s[0:1], s3, v6
	v_cndmask_b32_e64 v11, 0, -1, s[0:1]
	v_cmp_le_u32_e64 s[0:1], s2, v10
	v_cndmask_b32_e64 v10, 0, -1, s[0:1]
	v_cmp_eq_u32_e64 s[0:1], s3, v6
	v_cndmask_b32_e64 v6, v11, v10, s[0:1]
	v_add_co_u32_e64 v10, s[0:1], 2, v8
	v_subb_co_u32_e32 v4, vcc, v7, v4, vcc
	v_addc_co_u32_e64 v11, s[0:1], 0, v9, s[0:1]
	v_cmp_le_u32_e32 vcc, s3, v4
	v_add_co_u32_e64 v12, s[0:1], 1, v8
	v_cndmask_b32_e64 v7, 0, -1, vcc
	v_cmp_le_u32_e32 vcc, s2, v3
	v_addc_co_u32_e64 v13, s[0:1], 0, v9, s[0:1]
	v_cndmask_b32_e64 v3, 0, -1, vcc
	v_cmp_eq_u32_e32 vcc, s3, v4
	v_cmp_ne_u32_e64 s[0:1], 0, v6
	v_cndmask_b32_e32 v3, v7, v3, vcc
	v_cndmask_b32_e64 v6, v13, v11, s[0:1]
	v_cmp_ne_u32_e32 vcc, 0, v3
	v_cndmask_b32_e64 v3, v12, v10, s[0:1]
	v_cndmask_b32_e32 v4, v9, v6, vcc
	v_cndmask_b32_e32 v3, v8, v3, vcc
                                        ; implicit-def: $vgpr6
.LBB47_3:
	s_andn2_saveexec_b64 s[0:1], s[16:17]
	s_cbranch_execz .LBB47_5
; %bb.4:
	v_cvt_f32_u32_e32 v3, s2
	s_sub_i32 s7, 0, s2
	v_rcp_iflag_f32_e32 v3, v3
	v_mul_f32_e32 v3, 0x4f7ffffe, v3
	v_cvt_u32_f32_e32 v3, v3
	v_mul_lo_u32 v4, s7, v3
	v_mul_hi_u32 v4, v3, v4
	v_add_u32_e32 v3, v3, v4
	v_mul_hi_u32 v3, v6, v3
	v_mul_lo_u32 v4, v3, s2
	v_add_u32_e32 v7, 1, v3
	v_sub_u32_e32 v4, v6, v4
	v_subrev_u32_e32 v6, s2, v4
	v_cmp_le_u32_e32 vcc, s2, v4
	v_cndmask_b32_e32 v4, v4, v6, vcc
	v_cndmask_b32_e32 v3, v3, v7, vcc
	v_add_u32_e32 v6, 1, v3
	v_cmp_le_u32_e32 vcc, s2, v4
	v_cndmask_b32_e32 v3, v3, v6, vcc
	v_mov_b32_e32 v4, 0
.LBB47_5:
	s_or_b64 exec, exec, s[0:1]
	v_add_co_u32_e32 v3, vcc, v3, v5
	v_addc_co_u32_e32 v4, vcc, 0, v4, vcc
	v_add_co_u32_e32 v11, vcc, 1, v3
	v_addc_co_u32_e32 v12, vcc, 0, v4, vcc
	v_cmp_lt_u64_e32 vcc, 3, v[11:12]
	s_mov_b64 s[0:1], -1
	s_and_saveexec_b64 s[16:17], vcc
	s_cbranch_execz .LBB47_9
; %bb.6:
	v_mad_u64_u32 v[7:8], s[0:1], s2, 3, v[1:2]
	v_mad_u64_u32 v[5:6], s[0:1], s2, 2, v[1:2]
	;; [unrolled: 1-line block ×4, first 2 shown]
	s_lshl_b64 s[18:19], s[2:3], 2
	s_mul_i32 s1, s4, 3
	s_mul_hi_u32 s0, s4, 3
	s_add_u32 s1, s1, s6
	s_addc_u32 s0, s0, 0
	s_mul_i32 s0, s0, s20
	s_mul_hi_u32 s7, s1, s20
	s_add_i32 s44, s7, s0
	s_mul_i32 s45, s1, s20
	s_lshl_b64 s[0:1], s[4:5], 1
	s_add_u32 s0, s0, s6
	v_mov_b32_e32 v14, v12
	v_lshl_add_u32 v6, s3, 1, v6
	v_add_u32_e32 v4, s3, v4
	v_mov_b32_e32 v9, s15
	v_add_co_u32_e32 v0, vcc, s14, v0
	s_addc_u32 s1, s1, 0
	v_and_b32_e32 v13, -4, v11
	v_addc_co_u32_e32 v17, vcc, 0, v9, vcc
	s_mul_i32 s1, s1, s20
	s_mul_hi_u32 s5, s0, s20
	v_mov_b32_e32 v16, v14
	v_mov_b32_e32 v10, v8
	s_mov_b32 s25, s12
	s_mov_b32 s26, s12
	s_mov_b32 s27, s12
	s_mov_b32 s28, s12
	s_mov_b32 s29, s10
	s_mov_b32 s30, s11
	s_mov_b32 s31, s10
	s_mov_b32 s33, s11
	s_mov_b32 s34, s10
	s_mov_b32 s35, s11
	s_mov_b32 s36, s10
	s_mov_b32 s37, s11
	s_mov_b32 s38, s18
	s_mov_b32 s39, s19
	s_mov_b32 s40, s18
	s_mov_b32 s41, s19
	s_mov_b32 s42, s18
	s_mov_b32 s43, s19
	s_add_i32 s5, s5, s1
	s_mul_i32 s46, s0, s20
	s_mov_b64 s[6:7], 0
	v_mov_b32_e32 v15, v13
	v_mov_b32_e32 v9, v7
	;; [unrolled: 1-line block ×8, first 2 shown]
.LBB47_7:                               ; =>This Inner Loop Header: Depth=1
	v_mov_b32_e32 v18, s31
	v_mov_b32_e32 v19, s33
	v_mad_u64_u32 v[18:19], s[0:1], v5, s26, v[18:19]
	v_mov_b32_e32 v19, s30
	v_lshlrev_b16_e32 v20, 8, v18
	v_mov_b32_e32 v18, s29
	v_mad_u64_u32 v[18:19], s[0:1], v3, s25, v[18:19]
	v_mov_b32_e32 v19, s21
	v_or_b32_sdwa v20, v18, v20 dst_sel:DWORD dst_unused:UNUSED_PAD src0_sel:BYTE_0 src1_sel:DWORD
	v_add_co_u32_e32 v18, vcc, s22, v0
	v_addc_co_u32_e32 v19, vcc, v17, v19, vcc
	v_and_b32_e32 v20, 0xffff, v20
	global_store_byte v[18:19], v20, off
	v_mov_b32_e32 v19, s24
	v_add_co_u32_e32 v18, vcc, s23, v0
	v_addc_co_u32_e32 v19, vcc, v17, v19, vcc
	v_lshrrev_b32_e32 v20, 8, v20
	global_store_byte v[18:19], v20, off
	v_mov_b32_e32 v18, s36
	v_mov_b32_e32 v19, s37
	v_mad_u64_u32 v[18:19], s[0:1], v9, s28, v[18:19]
	v_mov_b32_e32 v19, s35
	v_lshlrev_b16_e32 v20, 8, v18
	v_mov_b32_e32 v18, s34
	v_mad_u64_u32 v[18:19], s[0:1], v7, s27, v[18:19]
	v_mov_b32_e32 v19, s5
	v_add_co_u32_e64 v3, s[0:1], s18, v3
	v_or_b32_sdwa v20, v18, v20 dst_sel:DWORD dst_unused:UNUSED_PAD src0_sel:BYTE_0 src1_sel:DWORD
	v_add_co_u32_e32 v18, vcc, s46, v0
	v_addc_co_u32_e32 v19, vcc, v17, v19, vcc
	global_store_byte v[18:19], v20, off
	v_mov_b32_e32 v19, s44
	v_add_co_u32_e32 v18, vcc, s45, v0
	v_addc_co_u32_e32 v19, vcc, v17, v19, vcc
	v_lshrrev_b32_e32 v20, 8, v20
	global_store_byte v[18:19], v20, off
	v_mov_b32_e32 v18, s19
	v_add_co_u32_e32 v0, vcc, s18, v0
	v_addc_co_u32_e32 v17, vcc, v17, v18, vcc
	v_mov_b32_e32 v18, s43
	v_add_co_u32_e32 v9, vcc, s42, v9
	v_addc_co_u32_e32 v10, vcc, v10, v18, vcc
	;; [unrolled: 3-line block ×4, first 2 shown]
	v_add_co_u32_e32 v15, vcc, -4, v15
	v_addc_co_u32_e32 v16, vcc, -1, v16, vcc
	v_cmp_eq_u64_e32 vcc, 0, v[15:16]
	v_mov_b32_e32 v18, s19
	s_or_b64 s[6:7], vcc, s[6:7]
	v_addc_co_u32_e64 v4, vcc, v4, v18, s[0:1]
	s_andn2_b64 exec, exec, s[6:7]
	s_cbranch_execnz .LBB47_7
; %bb.8:
	s_or_b64 exec, exec, s[6:7]
	v_mad_u64_u32 v[1:2], s[0:1], v13, s2, v[1:2]
	v_mul_lo_u32 v0, v13, s3
	v_mul_lo_u32 v3, v14, s2
	v_cmp_ne_u64_e32 vcc, v[11:12], v[13:14]
	s_orn2_b64 s[0:1], vcc, exec
	v_add3_u32 v2, v3, v2, v0
.LBB47_9:
	s_or_b64 exec, exec, s[16:17]
	s_and_b64 exec, exec, s[0:1]
	s_cbranch_execz .LBB47_12
; %bb.10:
	v_mov_b32_e32 v3, s10
	v_mov_b32_e32 v4, s11
	v_mad_u64_u32 v[3:4], s[0:1], v1, s12, v[3:4]
	v_mul_lo_u32 v0, v1, s13
	v_mul_lo_u32 v5, v2, s12
	s_mul_i32 s0, s13, s20
	s_mul_hi_u32 s1, s12, s20
	s_add_i32 s0, s1, s0
	s_mul_i32 s1, s12, s20
	s_mul_i32 s0, s0, s4
	s_mul_hi_u32 s5, s1, s4
	s_add_i32 s0, s5, s0
	v_add3_u32 v4, v5, v4, v0
	s_mul_i32 s6, s1, s4
	s_mov_b64 s[4:5], 0
	v_mov_b32_e32 v0, s15
	v_mov_b32_e32 v5, s3
	;; [unrolled: 1-line block ×3, first 2 shown]
.LBB47_11:                              ; =>This Inner Loop Header: Depth=1
	v_add_co_u32_e32 v7, vcc, s14, v1
	v_addc_co_u32_e32 v8, vcc, v0, v2, vcc
	v_add_co_u32_e32 v1, vcc, s2, v1
	v_addc_co_u32_e32 v2, vcc, v2, v5, vcc
	v_cmp_le_i64_e32 vcc, s[8:9], v[1:2]
	global_store_byte v[7:8], v3, off
	v_add_co_u32_e64 v3, s[0:1], s6, v3
	s_or_b64 s[4:5], vcc, s[4:5]
	v_addc_co_u32_e64 v4, vcc, v4, v6, s[0:1]
	s_andn2_b64 exec, exec, s[4:5]
	s_cbranch_execnz .LBB47_11
.LBB47_12:
	s_endpgm
	.section	.rodata,"a",@progbits
	.p2align	6, 0x0
	.amdhsa_kernel _ZN12_GLOBAL__N_141elementwise_kernel_with_index_grid_strideIlZZZN2at6native14range_cuda_outERKN3c106ScalarES6_S6_RNS1_6TensorEENKUlvE_clEvENKUlvE_clEvEUllE_EEvT_T0_PN15function_traitsISD_E11result_typeE
		.amdhsa_group_segment_fixed_size 0
		.amdhsa_private_segment_fixed_size 0
		.amdhsa_kernarg_size 288
		.amdhsa_user_sgpr_count 6
		.amdhsa_user_sgpr_private_segment_buffer 1
		.amdhsa_user_sgpr_dispatch_ptr 0
		.amdhsa_user_sgpr_queue_ptr 0
		.amdhsa_user_sgpr_kernarg_segment_ptr 1
		.amdhsa_user_sgpr_dispatch_id 0
		.amdhsa_user_sgpr_flat_scratch_init 0
		.amdhsa_user_sgpr_private_segment_size 0
		.amdhsa_uses_dynamic_stack 0
		.amdhsa_system_sgpr_private_segment_wavefront_offset 0
		.amdhsa_system_sgpr_workgroup_id_x 1
		.amdhsa_system_sgpr_workgroup_id_y 0
		.amdhsa_system_sgpr_workgroup_id_z 0
		.amdhsa_system_sgpr_workgroup_info 0
		.amdhsa_system_vgpr_workitem_id 0
		.amdhsa_next_free_vgpr 21
		.amdhsa_next_free_sgpr 47
		.amdhsa_reserve_vcc 1
		.amdhsa_reserve_flat_scratch 0
		.amdhsa_float_round_mode_32 0
		.amdhsa_float_round_mode_16_64 0
		.amdhsa_float_denorm_mode_32 3
		.amdhsa_float_denorm_mode_16_64 3
		.amdhsa_dx10_clamp 1
		.amdhsa_ieee_mode 1
		.amdhsa_fp16_overflow 0
		.amdhsa_exception_fp_ieee_invalid_op 0
		.amdhsa_exception_fp_denorm_src 0
		.amdhsa_exception_fp_ieee_div_zero 0
		.amdhsa_exception_fp_ieee_overflow 0
		.amdhsa_exception_fp_ieee_underflow 0
		.amdhsa_exception_fp_ieee_inexact 0
		.amdhsa_exception_int_div_zero 0
	.end_amdhsa_kernel
	.section	.text._ZN12_GLOBAL__N_141elementwise_kernel_with_index_grid_strideIlZZZN2at6native14range_cuda_outERKN3c106ScalarES6_S6_RNS1_6TensorEENKUlvE_clEvENKUlvE_clEvEUllE_EEvT_T0_PN15function_traitsISD_E11result_typeE,"axG",@progbits,_ZN12_GLOBAL__N_141elementwise_kernel_with_index_grid_strideIlZZZN2at6native14range_cuda_outERKN3c106ScalarES6_S6_RNS1_6TensorEENKUlvE_clEvENKUlvE_clEvEUllE_EEvT_T0_PN15function_traitsISD_E11result_typeE,comdat
.Lfunc_end47:
	.size	_ZN12_GLOBAL__N_141elementwise_kernel_with_index_grid_strideIlZZZN2at6native14range_cuda_outERKN3c106ScalarES6_S6_RNS1_6TensorEENKUlvE_clEvENKUlvE_clEvEUllE_EEvT_T0_PN15function_traitsISD_E11result_typeE, .Lfunc_end47-_ZN12_GLOBAL__N_141elementwise_kernel_with_index_grid_strideIlZZZN2at6native14range_cuda_outERKN3c106ScalarES6_S6_RNS1_6TensorEENKUlvE_clEvENKUlvE_clEvEUllE_EEvT_T0_PN15function_traitsISD_E11result_typeE
                                        ; -- End function
	.set _ZN12_GLOBAL__N_141elementwise_kernel_with_index_grid_strideIlZZZN2at6native14range_cuda_outERKN3c106ScalarES6_S6_RNS1_6TensorEENKUlvE_clEvENKUlvE_clEvEUllE_EEvT_T0_PN15function_traitsISD_E11result_typeE.num_vgpr, 21
	.set _ZN12_GLOBAL__N_141elementwise_kernel_with_index_grid_strideIlZZZN2at6native14range_cuda_outERKN3c106ScalarES6_S6_RNS1_6TensorEENKUlvE_clEvENKUlvE_clEvEUllE_EEvT_T0_PN15function_traitsISD_E11result_typeE.num_agpr, 0
	.set _ZN12_GLOBAL__N_141elementwise_kernel_with_index_grid_strideIlZZZN2at6native14range_cuda_outERKN3c106ScalarES6_S6_RNS1_6TensorEENKUlvE_clEvENKUlvE_clEvEUllE_EEvT_T0_PN15function_traitsISD_E11result_typeE.numbered_sgpr, 47
	.set _ZN12_GLOBAL__N_141elementwise_kernel_with_index_grid_strideIlZZZN2at6native14range_cuda_outERKN3c106ScalarES6_S6_RNS1_6TensorEENKUlvE_clEvENKUlvE_clEvEUllE_EEvT_T0_PN15function_traitsISD_E11result_typeE.num_named_barrier, 0
	.set _ZN12_GLOBAL__N_141elementwise_kernel_with_index_grid_strideIlZZZN2at6native14range_cuda_outERKN3c106ScalarES6_S6_RNS1_6TensorEENKUlvE_clEvENKUlvE_clEvEUllE_EEvT_T0_PN15function_traitsISD_E11result_typeE.private_seg_size, 0
	.set _ZN12_GLOBAL__N_141elementwise_kernel_with_index_grid_strideIlZZZN2at6native14range_cuda_outERKN3c106ScalarES6_S6_RNS1_6TensorEENKUlvE_clEvENKUlvE_clEvEUllE_EEvT_T0_PN15function_traitsISD_E11result_typeE.uses_vcc, 1
	.set _ZN12_GLOBAL__N_141elementwise_kernel_with_index_grid_strideIlZZZN2at6native14range_cuda_outERKN3c106ScalarES6_S6_RNS1_6TensorEENKUlvE_clEvENKUlvE_clEvEUllE_EEvT_T0_PN15function_traitsISD_E11result_typeE.uses_flat_scratch, 0
	.set _ZN12_GLOBAL__N_141elementwise_kernel_with_index_grid_strideIlZZZN2at6native14range_cuda_outERKN3c106ScalarES6_S6_RNS1_6TensorEENKUlvE_clEvENKUlvE_clEvEUllE_EEvT_T0_PN15function_traitsISD_E11result_typeE.has_dyn_sized_stack, 0
	.set _ZN12_GLOBAL__N_141elementwise_kernel_with_index_grid_strideIlZZZN2at6native14range_cuda_outERKN3c106ScalarES6_S6_RNS1_6TensorEENKUlvE_clEvENKUlvE_clEvEUllE_EEvT_T0_PN15function_traitsISD_E11result_typeE.has_recursion, 0
	.set _ZN12_GLOBAL__N_141elementwise_kernel_with_index_grid_strideIlZZZN2at6native14range_cuda_outERKN3c106ScalarES6_S6_RNS1_6TensorEENKUlvE_clEvENKUlvE_clEvEUllE_EEvT_T0_PN15function_traitsISD_E11result_typeE.has_indirect_call, 0
	.section	.AMDGPU.csdata,"",@progbits
; Kernel info:
; codeLenInByte = 1616
; TotalNumSgprs: 51
; NumVgprs: 21
; ScratchSize: 0
; MemoryBound: 0
; FloatMode: 240
; IeeeMode: 1
; LDSByteSize: 0 bytes/workgroup (compile time only)
; SGPRBlocks: 6
; VGPRBlocks: 5
; NumSGPRsForWavesPerEU: 51
; NumVGPRsForWavesPerEU: 21
; Occupancy: 10
; WaveLimiterHint : 0
; COMPUTE_PGM_RSRC2:SCRATCH_EN: 0
; COMPUTE_PGM_RSRC2:USER_SGPR: 6
; COMPUTE_PGM_RSRC2:TRAP_HANDLER: 0
; COMPUTE_PGM_RSRC2:TGID_X_EN: 1
; COMPUTE_PGM_RSRC2:TGID_Y_EN: 0
; COMPUTE_PGM_RSRC2:TGID_Z_EN: 0
; COMPUTE_PGM_RSRC2:TIDIG_COMP_CNT: 0
	.section	.text._ZN12_GLOBAL__N_141elementwise_kernel_with_index_grid_strideIiZZZN2at6native14range_cuda_outERKN3c106ScalarES6_S6_RNS1_6TensorEENKUlvE_clEvENKUlvE0_clEvEUllE_EEvT_T0_PN15function_traitsISD_E11result_typeE,"axG",@progbits,_ZN12_GLOBAL__N_141elementwise_kernel_with_index_grid_strideIiZZZN2at6native14range_cuda_outERKN3c106ScalarES6_S6_RNS1_6TensorEENKUlvE_clEvENKUlvE0_clEvEUllE_EEvT_T0_PN15function_traitsISD_E11result_typeE,comdat
	.globl	_ZN12_GLOBAL__N_141elementwise_kernel_with_index_grid_strideIiZZZN2at6native14range_cuda_outERKN3c106ScalarES6_S6_RNS1_6TensorEENKUlvE_clEvENKUlvE0_clEvEUllE_EEvT_T0_PN15function_traitsISD_E11result_typeE ; -- Begin function _ZN12_GLOBAL__N_141elementwise_kernel_with_index_grid_strideIiZZZN2at6native14range_cuda_outERKN3c106ScalarES6_S6_RNS1_6TensorEENKUlvE_clEvENKUlvE0_clEvEUllE_EEvT_T0_PN15function_traitsISD_E11result_typeE
	.p2align	8
	.type	_ZN12_GLOBAL__N_141elementwise_kernel_with_index_grid_strideIiZZZN2at6native14range_cuda_outERKN3c106ScalarES6_S6_RNS1_6TensorEENKUlvE_clEvENKUlvE0_clEvEUllE_EEvT_T0_PN15function_traitsISD_E11result_typeE,@function
_ZN12_GLOBAL__N_141elementwise_kernel_with_index_grid_strideIiZZZN2at6native14range_cuda_outERKN3c106ScalarES6_S6_RNS1_6TensorEENKUlvE_clEvENKUlvE0_clEvEUllE_EEvT_T0_PN15function_traitsISD_E11result_typeE: ; @_ZN12_GLOBAL__N_141elementwise_kernel_with_index_grid_strideIiZZZN2at6native14range_cuda_outERKN3c106ScalarES6_S6_RNS1_6TensorEENKUlvE_clEvENKUlvE0_clEvEUllE_EEvT_T0_PN15function_traitsISD_E11result_typeE
; %bb.0:
	s_load_dword s2, s[4:5], 0x2c
	s_load_dword s7, s[4:5], 0x0
	s_add_u32 s0, s4, 32
	s_addc_u32 s1, s5, 0
	s_waitcnt lgkmcnt(0)
	s_and_b32 s2, s2, 0xffff
	s_mul_i32 s3, s6, s2
	v_add_u32_e32 v1, s3, v0
	v_cmp_gt_i32_e32 vcc, s7, v1
	s_and_saveexec_b64 s[8:9], vcc
	s_cbranch_execz .LBB48_8
; %bb.1:
	s_load_dword s0, s[0:1], 0x0
	s_waitcnt lgkmcnt(0)
	s_mul_i32 s12, s0, s2
	v_cvt_f32_u32_e32 v2, s12
	s_sub_i32 s1, 0, s12
	s_add_i32 s0, s6, s0
	s_mul_i32 s0, s0, s2
	v_rcp_iflag_f32_e32 v2, v2
	v_add_u32_e32 v4, s0, v0
	v_mov_b32_e32 v5, s0
	v_cmp_gt_i32_e32 vcc, s7, v4
	v_mul_f32_e32 v2, 0x4f7ffffe, v2
	v_cvt_u32_f32_e32 v2, v2
	v_max_i32_e32 v6, s7, v4
	s_load_dwordx4 s[8:11], s[4:5], 0x8
	s_load_dwordx2 s[2:3], s[4:5], 0x18
	s_mov_b64 s[4:5], -1
	v_mul_lo_u32 v3, s1, v2
	v_addc_co_u32_e64 v0, s[0:1], v0, v5, vcc
	v_sub_u32_e32 v0, v6, v0
	v_mul_hi_u32 v3, v2, v3
	v_add_u32_e32 v2, v2, v3
	v_mul_hi_u32 v2, v0, v2
	v_mul_lo_u32 v3, v2, s12
	v_add_u32_e32 v4, 1, v2
	v_sub_u32_e32 v0, v0, v3
	v_cmp_le_u32_e64 s[0:1], s12, v0
	v_subrev_u32_e32 v3, s12, v0
	v_cndmask_b32_e64 v2, v2, v4, s[0:1]
	v_cndmask_b32_e64 v0, v0, v3, s[0:1]
	v_add_u32_e32 v3, 1, v2
	v_cmp_le_u32_e64 s[0:1], s12, v0
	v_cndmask_b32_e64 v0, v2, v3, s[0:1]
	v_addc_co_u32_e32 v0, vcc, 1, v0, vcc
	v_cmp_lt_u32_e32 vcc, 3, v0
	s_and_saveexec_b64 s[0:1], vcc
	s_cbranch_execz .LBB48_5
; %bb.2:
	v_add_u32_e32 v2, s12, v1
	v_mad_u64_u32 v[4:5], s[4:5], s12, 3, v[1:2]
	v_lshl_add_u32 v3, s12, 1, v1
	v_and_b32_e32 v14, -4, v0
	s_lshl_b32 s16, s12, 2
	v_mov_b32_e32 v5, v4
	s_waitcnt lgkmcnt(0)
	s_mov_b32 s6, s10
	s_mov_b32 s13, s10
	;; [unrolled: 1-line block ×7, first 2 shown]
	s_mov_b64 s[4:5], 0
	v_mov_b32_e32 v6, s8
	v_mov_b32_e32 v7, s9
	;; [unrolled: 1-line block ×13, first 2 shown]
.LBB48_3:                               ; =>This Inner Loop Header: Depth=1
	v_mad_u64_u32 v[17:18], s[20:21], s13, v3, v[8:9]
	v_mad_u64_u32 v[18:19], s[20:21], s6, v2, v[6:7]
	v_lshlrev_b16_e32 v17, 8, v17
	v_ashrrev_i32_e32 v21, 31, v2
	v_or_b32_sdwa v22, v18, v17 dst_sel:DWORD dst_unused:UNUSED_PAD src0_sel:BYTE_0 src1_sel:DWORD
	v_add_co_u32_e32 v17, vcc, s2, v2
	v_addc_co_u32_e32 v18, vcc, v15, v21, vcc
	v_and_b32_e32 v22, 0xffff, v22
	v_ashrrev_i32_e32 v19, 31, v3
	v_mov_b32_e32 v21, s3
	global_store_byte v[17:18], v22, off
	v_add_co_u32_e32 v17, vcc, s2, v3
	v_addc_co_u32_e32 v18, vcc, v21, v19, vcc
	v_lshrrev_b32_e32 v22, 8, v22
	v_ashrrev_i32_e32 v19, 31, v4
	global_store_byte v[17:18], v22, off
	v_add_co_u32_e32 v17, vcc, s2, v4
	v_addc_co_u32_e32 v18, vcc, v21, v19, vcc
	v_ashrrev_i32_e32 v20, 31, v5
	v_add_co_u32_e32 v19, vcc, s2, v5
	v_addc_co_u32_e32 v20, vcc, v21, v20, vcc
	v_mad_u64_u32 v[21:22], s[20:21], s15, v5, v[12:13]
	v_add_u32_e32 v16, -4, v16
	v_cmp_eq_u32_e32 vcc, 0, v16
	v_lshlrev_b16_e32 v23, 8, v21
	v_mad_u64_u32 v[21:22], s[20:21], s14, v4, v[10:11]
	v_add_u32_e32 v5, s19, v5
	v_add_u32_e32 v4, s18, v4
	v_or_b32_sdwa v21, v21, v23 dst_sel:DWORD dst_unused:UNUSED_PAD src0_sel:BYTE_0 src1_sel:DWORD
	v_add_u32_e32 v3, s17, v3
	v_add_u32_e32 v2, s16, v2
	s_or_b64 s[4:5], vcc, s[4:5]
	v_lshrrev_b32_e32 v22, 8, v21
	global_store_byte v[17:18], v21, off
	global_store_byte v[19:20], v22, off
	s_andn2_b64 exec, exec, s[4:5]
	s_cbranch_execnz .LBB48_3
; %bb.4:
	s_or_b64 exec, exec, s[4:5]
	v_mad_u64_u32 v[1:2], s[4:5], v14, s12, v[1:2]
	v_cmp_ne_u32_e32 vcc, v0, v14
	s_orn2_b64 s[4:5], vcc, exec
.LBB48_5:
	s_or_b64 exec, exec, s[0:1]
	s_and_b64 exec, exec, s[4:5]
	s_cbranch_execz .LBB48_8
; %bb.6:
	s_waitcnt lgkmcnt(0)
	v_mov_b32_e32 v2, s8
	v_mov_b32_e32 v3, s9
	v_ashrrev_i32_e32 v0, 31, v1
	v_mad_u64_u32 v[2:3], s[0:1], s10, v1, v[2:3]
	v_mul_lo_u32 v4, s11, v1
	v_mul_lo_u32 v5, s10, v0
	s_ashr_i32 s0, s12, 31
	s_mul_hi_u32 s1, s10, s12
	s_mul_i32 s4, s10, s0
	s_add_i32 s1, s1, s4
	s_mul_i32 s4, s11, s12
	s_add_i32 s1, s1, s4
	v_add3_u32 v3, v4, v3, v5
	s_mul_i32 s6, s10, s12
	s_mov_b64 s[4:5], 0
	v_mov_b32_e32 v4, s3
	v_mov_b32_e32 v5, s0
	v_mov_b32_e32 v6, s1
.LBB48_7:                               ; =>This Inner Loop Header: Depth=1
	v_add_co_u32_e32 v7, vcc, s2, v1
	v_addc_co_u32_e32 v8, vcc, v4, v0, vcc
	v_add_co_u32_e32 v1, vcc, s12, v1
	v_addc_co_u32_e32 v0, vcc, v0, v5, vcc
	global_store_byte v[7:8], v2, off
	v_add_co_u32_e32 v2, vcc, s6, v2
	v_cmp_le_i32_e64 s[0:1], s7, v1
	s_or_b64 s[4:5], s[0:1], s[4:5]
	v_addc_co_u32_e32 v3, vcc, v3, v6, vcc
	s_andn2_b64 exec, exec, s[4:5]
	s_cbranch_execnz .LBB48_7
.LBB48_8:
	s_endpgm
	.section	.rodata,"a",@progbits
	.p2align	6, 0x0
	.amdhsa_kernel _ZN12_GLOBAL__N_141elementwise_kernel_with_index_grid_strideIiZZZN2at6native14range_cuda_outERKN3c106ScalarES6_S6_RNS1_6TensorEENKUlvE_clEvENKUlvE0_clEvEUllE_EEvT_T0_PN15function_traitsISD_E11result_typeE
		.amdhsa_group_segment_fixed_size 0
		.amdhsa_private_segment_fixed_size 0
		.amdhsa_kernarg_size 288
		.amdhsa_user_sgpr_count 6
		.amdhsa_user_sgpr_private_segment_buffer 1
		.amdhsa_user_sgpr_dispatch_ptr 0
		.amdhsa_user_sgpr_queue_ptr 0
		.amdhsa_user_sgpr_kernarg_segment_ptr 1
		.amdhsa_user_sgpr_dispatch_id 0
		.amdhsa_user_sgpr_flat_scratch_init 0
		.amdhsa_user_sgpr_private_segment_size 0
		.amdhsa_uses_dynamic_stack 0
		.amdhsa_system_sgpr_private_segment_wavefront_offset 0
		.amdhsa_system_sgpr_workgroup_id_x 1
		.amdhsa_system_sgpr_workgroup_id_y 0
		.amdhsa_system_sgpr_workgroup_id_z 0
		.amdhsa_system_sgpr_workgroup_info 0
		.amdhsa_system_vgpr_workitem_id 0
		.amdhsa_next_free_vgpr 24
		.amdhsa_next_free_sgpr 22
		.amdhsa_reserve_vcc 1
		.amdhsa_reserve_flat_scratch 0
		.amdhsa_float_round_mode_32 0
		.amdhsa_float_round_mode_16_64 0
		.amdhsa_float_denorm_mode_32 3
		.amdhsa_float_denorm_mode_16_64 3
		.amdhsa_dx10_clamp 1
		.amdhsa_ieee_mode 1
		.amdhsa_fp16_overflow 0
		.amdhsa_exception_fp_ieee_invalid_op 0
		.amdhsa_exception_fp_denorm_src 0
		.amdhsa_exception_fp_ieee_div_zero 0
		.amdhsa_exception_fp_ieee_overflow 0
		.amdhsa_exception_fp_ieee_underflow 0
		.amdhsa_exception_fp_ieee_inexact 0
		.amdhsa_exception_int_div_zero 0
	.end_amdhsa_kernel
	.section	.text._ZN12_GLOBAL__N_141elementwise_kernel_with_index_grid_strideIiZZZN2at6native14range_cuda_outERKN3c106ScalarES6_S6_RNS1_6TensorEENKUlvE_clEvENKUlvE0_clEvEUllE_EEvT_T0_PN15function_traitsISD_E11result_typeE,"axG",@progbits,_ZN12_GLOBAL__N_141elementwise_kernel_with_index_grid_strideIiZZZN2at6native14range_cuda_outERKN3c106ScalarES6_S6_RNS1_6TensorEENKUlvE_clEvENKUlvE0_clEvEUllE_EEvT_T0_PN15function_traitsISD_E11result_typeE,comdat
.Lfunc_end48:
	.size	_ZN12_GLOBAL__N_141elementwise_kernel_with_index_grid_strideIiZZZN2at6native14range_cuda_outERKN3c106ScalarES6_S6_RNS1_6TensorEENKUlvE_clEvENKUlvE0_clEvEUllE_EEvT_T0_PN15function_traitsISD_E11result_typeE, .Lfunc_end48-_ZN12_GLOBAL__N_141elementwise_kernel_with_index_grid_strideIiZZZN2at6native14range_cuda_outERKN3c106ScalarES6_S6_RNS1_6TensorEENKUlvE_clEvENKUlvE0_clEvEUllE_EEvT_T0_PN15function_traitsISD_E11result_typeE
                                        ; -- End function
	.set _ZN12_GLOBAL__N_141elementwise_kernel_with_index_grid_strideIiZZZN2at6native14range_cuda_outERKN3c106ScalarES6_S6_RNS1_6TensorEENKUlvE_clEvENKUlvE0_clEvEUllE_EEvT_T0_PN15function_traitsISD_E11result_typeE.num_vgpr, 24
	.set _ZN12_GLOBAL__N_141elementwise_kernel_with_index_grid_strideIiZZZN2at6native14range_cuda_outERKN3c106ScalarES6_S6_RNS1_6TensorEENKUlvE_clEvENKUlvE0_clEvEUllE_EEvT_T0_PN15function_traitsISD_E11result_typeE.num_agpr, 0
	.set _ZN12_GLOBAL__N_141elementwise_kernel_with_index_grid_strideIiZZZN2at6native14range_cuda_outERKN3c106ScalarES6_S6_RNS1_6TensorEENKUlvE_clEvENKUlvE0_clEvEUllE_EEvT_T0_PN15function_traitsISD_E11result_typeE.numbered_sgpr, 22
	.set _ZN12_GLOBAL__N_141elementwise_kernel_with_index_grid_strideIiZZZN2at6native14range_cuda_outERKN3c106ScalarES6_S6_RNS1_6TensorEENKUlvE_clEvENKUlvE0_clEvEUllE_EEvT_T0_PN15function_traitsISD_E11result_typeE.num_named_barrier, 0
	.set _ZN12_GLOBAL__N_141elementwise_kernel_with_index_grid_strideIiZZZN2at6native14range_cuda_outERKN3c106ScalarES6_S6_RNS1_6TensorEENKUlvE_clEvENKUlvE0_clEvEUllE_EEvT_T0_PN15function_traitsISD_E11result_typeE.private_seg_size, 0
	.set _ZN12_GLOBAL__N_141elementwise_kernel_with_index_grid_strideIiZZZN2at6native14range_cuda_outERKN3c106ScalarES6_S6_RNS1_6TensorEENKUlvE_clEvENKUlvE0_clEvEUllE_EEvT_T0_PN15function_traitsISD_E11result_typeE.uses_vcc, 1
	.set _ZN12_GLOBAL__N_141elementwise_kernel_with_index_grid_strideIiZZZN2at6native14range_cuda_outERKN3c106ScalarES6_S6_RNS1_6TensorEENKUlvE_clEvENKUlvE0_clEvEUllE_EEvT_T0_PN15function_traitsISD_E11result_typeE.uses_flat_scratch, 0
	.set _ZN12_GLOBAL__N_141elementwise_kernel_with_index_grid_strideIiZZZN2at6native14range_cuda_outERKN3c106ScalarES6_S6_RNS1_6TensorEENKUlvE_clEvENKUlvE0_clEvEUllE_EEvT_T0_PN15function_traitsISD_E11result_typeE.has_dyn_sized_stack, 0
	.set _ZN12_GLOBAL__N_141elementwise_kernel_with_index_grid_strideIiZZZN2at6native14range_cuda_outERKN3c106ScalarES6_S6_RNS1_6TensorEENKUlvE_clEvENKUlvE0_clEvEUllE_EEvT_T0_PN15function_traitsISD_E11result_typeE.has_recursion, 0
	.set _ZN12_GLOBAL__N_141elementwise_kernel_with_index_grid_strideIiZZZN2at6native14range_cuda_outERKN3c106ScalarES6_S6_RNS1_6TensorEENKUlvE_clEvENKUlvE0_clEvEUllE_EEvT_T0_PN15function_traitsISD_E11result_typeE.has_indirect_call, 0
	.section	.AMDGPU.csdata,"",@progbits
; Kernel info:
; codeLenInByte = 752
; TotalNumSgprs: 26
; NumVgprs: 24
; ScratchSize: 0
; MemoryBound: 0
; FloatMode: 240
; IeeeMode: 1
; LDSByteSize: 0 bytes/workgroup (compile time only)
; SGPRBlocks: 3
; VGPRBlocks: 5
; NumSGPRsForWavesPerEU: 26
; NumVGPRsForWavesPerEU: 24
; Occupancy: 10
; WaveLimiterHint : 0
; COMPUTE_PGM_RSRC2:SCRATCH_EN: 0
; COMPUTE_PGM_RSRC2:USER_SGPR: 6
; COMPUTE_PGM_RSRC2:TRAP_HANDLER: 0
; COMPUTE_PGM_RSRC2:TGID_X_EN: 1
; COMPUTE_PGM_RSRC2:TGID_Y_EN: 0
; COMPUTE_PGM_RSRC2:TGID_Z_EN: 0
; COMPUTE_PGM_RSRC2:TIDIG_COMP_CNT: 0
	.section	.text._ZN12_GLOBAL__N_141elementwise_kernel_with_index_grid_strideIlZZZN2at6native14range_cuda_outERKN3c106ScalarES6_S6_RNS1_6TensorEENKUlvE_clEvENKUlvE0_clEvEUllE_EEvT_T0_PN15function_traitsISD_E11result_typeE,"axG",@progbits,_ZN12_GLOBAL__N_141elementwise_kernel_with_index_grid_strideIlZZZN2at6native14range_cuda_outERKN3c106ScalarES6_S6_RNS1_6TensorEENKUlvE_clEvENKUlvE0_clEvEUllE_EEvT_T0_PN15function_traitsISD_E11result_typeE,comdat
	.globl	_ZN12_GLOBAL__N_141elementwise_kernel_with_index_grid_strideIlZZZN2at6native14range_cuda_outERKN3c106ScalarES6_S6_RNS1_6TensorEENKUlvE_clEvENKUlvE0_clEvEUllE_EEvT_T0_PN15function_traitsISD_E11result_typeE ; -- Begin function _ZN12_GLOBAL__N_141elementwise_kernel_with_index_grid_strideIlZZZN2at6native14range_cuda_outERKN3c106ScalarES6_S6_RNS1_6TensorEENKUlvE_clEvENKUlvE0_clEvEUllE_EEvT_T0_PN15function_traitsISD_E11result_typeE
	.p2align	8
	.type	_ZN12_GLOBAL__N_141elementwise_kernel_with_index_grid_strideIlZZZN2at6native14range_cuda_outERKN3c106ScalarES6_S6_RNS1_6TensorEENKUlvE_clEvENKUlvE0_clEvEUllE_EEvT_T0_PN15function_traitsISD_E11result_typeE,@function
_ZN12_GLOBAL__N_141elementwise_kernel_with_index_grid_strideIlZZZN2at6native14range_cuda_outERKN3c106ScalarES6_S6_RNS1_6TensorEENKUlvE_clEvENKUlvE0_clEvEUllE_EEvT_T0_PN15function_traitsISD_E11result_typeE: ; @_ZN12_GLOBAL__N_141elementwise_kernel_with_index_grid_strideIlZZZN2at6native14range_cuda_outERKN3c106ScalarES6_S6_RNS1_6TensorEENKUlvE_clEvENKUlvE0_clEvEUllE_EEvT_T0_PN15function_traitsISD_E11result_typeE
; %bb.0:
	s_load_dword s2, s[4:5], 0x2c
	s_load_dwordx8 s[8:15], s[4:5], 0x0
	s_add_u32 s0, s4, 32
	s_addc_u32 s1, s5, 0
	v_mov_b32_e32 v3, 0
	s_waitcnt lgkmcnt(0)
	s_and_b32 s20, s2, 0xffff
	s_mul_hi_u32 s21, s20, s6
	s_mul_i32 s22, s20, s6
	v_mov_b32_e32 v2, s21
	v_add_co_u32_e32 v1, vcc, s22, v0
	v_addc_co_u32_e32 v2, vcc, 0, v2, vcc
	v_cmp_gt_i64_e32 vcc, s[8:9], v[1:2]
	s_and_saveexec_b64 s[2:3], vcc
	s_cbranch_execz .LBB49_12
; %bb.1:
	s_load_dword s4, s[0:1], 0x0
	v_mov_b32_e32 v5, s8
	s_mov_b32 s5, 0
	s_waitcnt lgkmcnt(0)
	s_add_u32 s0, s6, s4
	s_addc_u32 s1, 0, 0
	s_mul_hi_u32 s2, s0, s20
	s_mul_i32 s1, s1, s20
	s_mul_i32 s23, s0, s20
	s_add_i32 s24, s2, s1
	v_mov_b32_e32 v4, s24
	v_add_co_u32_e32 v6, vcc, s23, v0
	v_addc_co_u32_e32 v7, vcc, 0, v4, vcc
	v_cmp_gt_i64_e32 vcc, s[8:9], v[6:7]
	v_mov_b32_e32 v4, s9
	v_cndmask_b32_e32 v8, v6, v5, vcc
	v_cndmask_b32_e64 v5, 0, 1, vcc
	v_cndmask_b32_e32 v4, v7, v4, vcc
	v_add_co_u32_e32 v6, vcc, v6, v5
	v_addc_co_u32_e32 v7, vcc, 0, v7, vcc
	v_sub_co_u32_e32 v6, vcc, v8, v6
	s_mul_hi_u32 s3, s20, s4
	v_subb_co_u32_e32 v7, vcc, v4, v7, vcc
	v_or_b32_e32 v4, s3, v7
	v_cmp_ne_u64_e32 vcc, 0, v[3:4]
	s_mul_i32 s2, s20, s4
                                        ; implicit-def: $vgpr3_vgpr4
	s_and_saveexec_b64 s[0:1], vcc
	s_xor_b64 s[16:17], exec, s[0:1]
	s_cbranch_execz .LBB49_3
; %bb.2:
	v_cvt_f32_u32_e32 v3, s2
	v_cvt_f32_u32_e32 v4, s3
	s_sub_u32 s7, 0, s2
	s_subb_u32 s18, 0, s3
	v_madmk_f32 v3, v4, 0x4f800000, v3
	v_rcp_f32_e32 v3, v3
	v_mul_f32_e32 v3, 0x5f7ffffc, v3
	v_mul_f32_e32 v4, 0x2f800000, v3
	v_trunc_f32_e32 v4, v4
	v_madmk_f32 v3, v4, 0xcf800000, v3
	v_cvt_u32_f32_e32 v4, v4
	v_cvt_u32_f32_e32 v3, v3
	v_readfirstlane_b32 s19, v4
	v_readfirstlane_b32 s0, v3
	s_mul_i32 s1, s7, s19
	s_mul_hi_u32 s26, s7, s0
	s_mul_i32 s25, s18, s0
	s_add_i32 s1, s26, s1
	s_mul_i32 s27, s7, s0
	s_add_i32 s1, s1, s25
	s_mul_i32 s26, s0, s1
	s_mul_hi_u32 s28, s0, s27
	s_mul_hi_u32 s25, s0, s1
	s_add_u32 s26, s28, s26
	s_addc_u32 s25, 0, s25
	s_mul_hi_u32 s29, s19, s27
	s_mul_i32 s27, s19, s27
	s_add_u32 s26, s26, s27
	s_mul_hi_u32 s28, s19, s1
	s_addc_u32 s25, s25, s29
	s_addc_u32 s26, s28, 0
	s_mul_i32 s1, s19, s1
	s_add_u32 s1, s25, s1
	s_addc_u32 s25, 0, s26
	s_add_u32 s26, s0, s1
	s_cselect_b64 s[0:1], -1, 0
	s_cmp_lg_u64 s[0:1], 0
	s_addc_u32 s19, s19, s25
	s_mul_i32 s0, s7, s19
	s_mul_hi_u32 s1, s7, s26
	s_add_i32 s0, s1, s0
	s_mul_i32 s18, s18, s26
	s_add_i32 s0, s0, s18
	s_mul_i32 s7, s7, s26
	s_mul_hi_u32 s18, s19, s7
	s_mul_i32 s25, s19, s7
	s_mul_i32 s28, s26, s0
	s_mul_hi_u32 s7, s26, s7
	s_mul_hi_u32 s27, s26, s0
	s_add_u32 s7, s7, s28
	s_addc_u32 s27, 0, s27
	s_add_u32 s7, s7, s25
	s_mul_hi_u32 s1, s19, s0
	s_addc_u32 s7, s27, s18
	s_addc_u32 s1, s1, 0
	s_mul_i32 s0, s19, s0
	s_add_u32 s0, s7, s0
	s_addc_u32 s7, 0, s1
	s_add_u32 s18, s26, s0
	s_cselect_b64 s[0:1], -1, 0
	s_cmp_lg_u64 s[0:1], 0
	s_addc_u32 s7, s19, s7
	v_mad_u64_u32 v[3:4], s[0:1], v6, s7, 0
	v_mul_hi_u32 v8, v6, s18
	v_add_co_u32_e32 v10, vcc, v8, v3
	v_addc_co_u32_e32 v11, vcc, 0, v4, vcc
	v_mad_u64_u32 v[3:4], s[0:1], v7, s18, 0
	v_mad_u64_u32 v[8:9], s[0:1], v7, s7, 0
	v_add_co_u32_e32 v3, vcc, v10, v3
	v_addc_co_u32_e32 v3, vcc, v11, v4, vcc
	v_addc_co_u32_e32 v4, vcc, 0, v9, vcc
	v_add_co_u32_e32 v8, vcc, v3, v8
	v_addc_co_u32_e32 v9, vcc, 0, v4, vcc
	v_mul_lo_u32 v10, s3, v8
	v_mul_lo_u32 v11, s2, v9
	v_mad_u64_u32 v[3:4], s[0:1], s2, v8, 0
	v_add3_u32 v4, v4, v11, v10
	v_sub_u32_e32 v10, v7, v4
	v_mov_b32_e32 v11, s3
	v_sub_co_u32_e32 v3, vcc, v6, v3
	v_subb_co_u32_e64 v6, s[0:1], v10, v11, vcc
	v_subrev_co_u32_e64 v10, s[0:1], s2, v3
	v_subbrev_co_u32_e64 v6, s[0:1], 0, v6, s[0:1]
	v_cmp_le_u32_e64 s[0:1], s3, v6
	v_cndmask_b32_e64 v11, 0, -1, s[0:1]
	v_cmp_le_u32_e64 s[0:1], s2, v10
	v_cndmask_b32_e64 v10, 0, -1, s[0:1]
	v_cmp_eq_u32_e64 s[0:1], s3, v6
	v_cndmask_b32_e64 v6, v11, v10, s[0:1]
	v_add_co_u32_e64 v10, s[0:1], 2, v8
	v_subb_co_u32_e32 v4, vcc, v7, v4, vcc
	v_addc_co_u32_e64 v11, s[0:1], 0, v9, s[0:1]
	v_cmp_le_u32_e32 vcc, s3, v4
	v_add_co_u32_e64 v12, s[0:1], 1, v8
	v_cndmask_b32_e64 v7, 0, -1, vcc
	v_cmp_le_u32_e32 vcc, s2, v3
	v_addc_co_u32_e64 v13, s[0:1], 0, v9, s[0:1]
	v_cndmask_b32_e64 v3, 0, -1, vcc
	v_cmp_eq_u32_e32 vcc, s3, v4
	v_cmp_ne_u32_e64 s[0:1], 0, v6
	v_cndmask_b32_e32 v3, v7, v3, vcc
	v_cndmask_b32_e64 v6, v13, v11, s[0:1]
	v_cmp_ne_u32_e32 vcc, 0, v3
	v_cndmask_b32_e64 v3, v12, v10, s[0:1]
	v_cndmask_b32_e32 v4, v9, v6, vcc
	v_cndmask_b32_e32 v3, v8, v3, vcc
                                        ; implicit-def: $vgpr6
.LBB49_3:
	s_andn2_saveexec_b64 s[0:1], s[16:17]
	s_cbranch_execz .LBB49_5
; %bb.4:
	v_cvt_f32_u32_e32 v3, s2
	s_sub_i32 s7, 0, s2
	v_rcp_iflag_f32_e32 v3, v3
	v_mul_f32_e32 v3, 0x4f7ffffe, v3
	v_cvt_u32_f32_e32 v3, v3
	v_mul_lo_u32 v4, s7, v3
	v_mul_hi_u32 v4, v3, v4
	v_add_u32_e32 v3, v3, v4
	v_mul_hi_u32 v3, v6, v3
	v_mul_lo_u32 v4, v3, s2
	v_add_u32_e32 v7, 1, v3
	v_sub_u32_e32 v4, v6, v4
	v_subrev_u32_e32 v6, s2, v4
	v_cmp_le_u32_e32 vcc, s2, v4
	v_cndmask_b32_e32 v4, v4, v6, vcc
	v_cndmask_b32_e32 v3, v3, v7, vcc
	v_add_u32_e32 v6, 1, v3
	v_cmp_le_u32_e32 vcc, s2, v4
	v_cndmask_b32_e32 v3, v3, v6, vcc
	v_mov_b32_e32 v4, 0
.LBB49_5:
	s_or_b64 exec, exec, s[0:1]
	v_add_co_u32_e32 v3, vcc, v3, v5
	v_addc_co_u32_e32 v4, vcc, 0, v4, vcc
	v_add_co_u32_e32 v11, vcc, 1, v3
	v_addc_co_u32_e32 v12, vcc, 0, v4, vcc
	v_cmp_lt_u64_e32 vcc, 3, v[11:12]
	s_mov_b64 s[0:1], -1
	s_and_saveexec_b64 s[16:17], vcc
	s_cbranch_execz .LBB49_9
; %bb.6:
	v_mad_u64_u32 v[7:8], s[0:1], s2, 3, v[1:2]
	v_mad_u64_u32 v[5:6], s[0:1], s2, 2, v[1:2]
	;; [unrolled: 1-line block ×4, first 2 shown]
	s_lshl_b64 s[18:19], s[2:3], 2
	s_mul_i32 s1, s4, 3
	s_mul_hi_u32 s0, s4, 3
	s_add_u32 s1, s1, s6
	s_addc_u32 s0, s0, 0
	s_mul_i32 s0, s0, s20
	s_mul_hi_u32 s7, s1, s20
	s_add_i32 s44, s7, s0
	s_mul_i32 s45, s1, s20
	s_lshl_b64 s[0:1], s[4:5], 1
	s_add_u32 s0, s0, s6
	v_mov_b32_e32 v14, v12
	v_lshl_add_u32 v6, s3, 1, v6
	v_add_u32_e32 v4, s3, v4
	v_mov_b32_e32 v9, s15
	v_add_co_u32_e32 v0, vcc, s14, v0
	s_addc_u32 s1, s1, 0
	v_and_b32_e32 v13, -4, v11
	v_addc_co_u32_e32 v17, vcc, 0, v9, vcc
	s_mul_i32 s1, s1, s20
	s_mul_hi_u32 s5, s0, s20
	v_mov_b32_e32 v16, v14
	v_mov_b32_e32 v10, v8
	s_mov_b32 s25, s12
	s_mov_b32 s26, s12
	;; [unrolled: 1-line block ×18, first 2 shown]
	s_add_i32 s5, s5, s1
	s_mul_i32 s46, s0, s20
	s_mov_b64 s[6:7], 0
	v_mov_b32_e32 v15, v13
	v_mov_b32_e32 v9, v7
	;; [unrolled: 1-line block ×8, first 2 shown]
.LBB49_7:                               ; =>This Inner Loop Header: Depth=1
	v_mov_b32_e32 v18, s31
	v_mov_b32_e32 v19, s33
	v_mad_u64_u32 v[18:19], s[0:1], v5, s26, v[18:19]
	v_mov_b32_e32 v19, s30
	v_lshlrev_b16_e32 v20, 8, v18
	v_mov_b32_e32 v18, s29
	v_mad_u64_u32 v[18:19], s[0:1], v3, s25, v[18:19]
	v_mov_b32_e32 v19, s21
	v_or_b32_sdwa v20, v18, v20 dst_sel:DWORD dst_unused:UNUSED_PAD src0_sel:BYTE_0 src1_sel:DWORD
	v_add_co_u32_e32 v18, vcc, s22, v0
	v_addc_co_u32_e32 v19, vcc, v17, v19, vcc
	v_and_b32_e32 v20, 0xffff, v20
	global_store_byte v[18:19], v20, off
	v_mov_b32_e32 v19, s24
	v_add_co_u32_e32 v18, vcc, s23, v0
	v_addc_co_u32_e32 v19, vcc, v17, v19, vcc
	v_lshrrev_b32_e32 v20, 8, v20
	global_store_byte v[18:19], v20, off
	v_mov_b32_e32 v18, s36
	v_mov_b32_e32 v19, s37
	v_mad_u64_u32 v[18:19], s[0:1], v9, s28, v[18:19]
	v_mov_b32_e32 v19, s35
	v_lshlrev_b16_e32 v20, 8, v18
	v_mov_b32_e32 v18, s34
	v_mad_u64_u32 v[18:19], s[0:1], v7, s27, v[18:19]
	v_mov_b32_e32 v19, s5
	v_add_co_u32_e64 v3, s[0:1], s18, v3
	v_or_b32_sdwa v20, v18, v20 dst_sel:DWORD dst_unused:UNUSED_PAD src0_sel:BYTE_0 src1_sel:DWORD
	v_add_co_u32_e32 v18, vcc, s46, v0
	v_addc_co_u32_e32 v19, vcc, v17, v19, vcc
	global_store_byte v[18:19], v20, off
	v_mov_b32_e32 v19, s44
	v_add_co_u32_e32 v18, vcc, s45, v0
	v_addc_co_u32_e32 v19, vcc, v17, v19, vcc
	v_lshrrev_b32_e32 v20, 8, v20
	global_store_byte v[18:19], v20, off
	v_mov_b32_e32 v18, s19
	v_add_co_u32_e32 v0, vcc, s18, v0
	v_addc_co_u32_e32 v17, vcc, v17, v18, vcc
	v_mov_b32_e32 v18, s43
	v_add_co_u32_e32 v9, vcc, s42, v9
	v_addc_co_u32_e32 v10, vcc, v10, v18, vcc
	;; [unrolled: 3-line block ×4, first 2 shown]
	v_add_co_u32_e32 v15, vcc, -4, v15
	v_addc_co_u32_e32 v16, vcc, -1, v16, vcc
	v_cmp_eq_u64_e32 vcc, 0, v[15:16]
	v_mov_b32_e32 v18, s19
	s_or_b64 s[6:7], vcc, s[6:7]
	v_addc_co_u32_e64 v4, vcc, v4, v18, s[0:1]
	s_andn2_b64 exec, exec, s[6:7]
	s_cbranch_execnz .LBB49_7
; %bb.8:
	s_or_b64 exec, exec, s[6:7]
	v_mad_u64_u32 v[1:2], s[0:1], v13, s2, v[1:2]
	v_mul_lo_u32 v0, v13, s3
	v_mul_lo_u32 v3, v14, s2
	v_cmp_ne_u64_e32 vcc, v[11:12], v[13:14]
	s_orn2_b64 s[0:1], vcc, exec
	v_add3_u32 v2, v3, v2, v0
.LBB49_9:
	s_or_b64 exec, exec, s[16:17]
	s_and_b64 exec, exec, s[0:1]
	s_cbranch_execz .LBB49_12
; %bb.10:
	v_mov_b32_e32 v3, s10
	v_mov_b32_e32 v4, s11
	v_mad_u64_u32 v[3:4], s[0:1], v1, s12, v[3:4]
	v_mul_lo_u32 v0, v1, s13
	v_mul_lo_u32 v5, v2, s12
	s_mul_i32 s0, s13, s20
	s_mul_hi_u32 s1, s12, s20
	s_add_i32 s0, s1, s0
	s_mul_i32 s1, s12, s20
	s_mul_i32 s0, s0, s4
	s_mul_hi_u32 s5, s1, s4
	s_add_i32 s0, s5, s0
	v_add3_u32 v4, v5, v4, v0
	s_mul_i32 s6, s1, s4
	s_mov_b64 s[4:5], 0
	v_mov_b32_e32 v0, s15
	v_mov_b32_e32 v5, s3
	;; [unrolled: 1-line block ×3, first 2 shown]
.LBB49_11:                              ; =>This Inner Loop Header: Depth=1
	v_add_co_u32_e32 v7, vcc, s14, v1
	v_addc_co_u32_e32 v8, vcc, v0, v2, vcc
	v_add_co_u32_e32 v1, vcc, s2, v1
	v_addc_co_u32_e32 v2, vcc, v2, v5, vcc
	v_cmp_le_i64_e32 vcc, s[8:9], v[1:2]
	global_store_byte v[7:8], v3, off
	v_add_co_u32_e64 v3, s[0:1], s6, v3
	s_or_b64 s[4:5], vcc, s[4:5]
	v_addc_co_u32_e64 v4, vcc, v4, v6, s[0:1]
	s_andn2_b64 exec, exec, s[4:5]
	s_cbranch_execnz .LBB49_11
.LBB49_12:
	s_endpgm
	.section	.rodata,"a",@progbits
	.p2align	6, 0x0
	.amdhsa_kernel _ZN12_GLOBAL__N_141elementwise_kernel_with_index_grid_strideIlZZZN2at6native14range_cuda_outERKN3c106ScalarES6_S6_RNS1_6TensorEENKUlvE_clEvENKUlvE0_clEvEUllE_EEvT_T0_PN15function_traitsISD_E11result_typeE
		.amdhsa_group_segment_fixed_size 0
		.amdhsa_private_segment_fixed_size 0
		.amdhsa_kernarg_size 288
		.amdhsa_user_sgpr_count 6
		.amdhsa_user_sgpr_private_segment_buffer 1
		.amdhsa_user_sgpr_dispatch_ptr 0
		.amdhsa_user_sgpr_queue_ptr 0
		.amdhsa_user_sgpr_kernarg_segment_ptr 1
		.amdhsa_user_sgpr_dispatch_id 0
		.amdhsa_user_sgpr_flat_scratch_init 0
		.amdhsa_user_sgpr_private_segment_size 0
		.amdhsa_uses_dynamic_stack 0
		.amdhsa_system_sgpr_private_segment_wavefront_offset 0
		.amdhsa_system_sgpr_workgroup_id_x 1
		.amdhsa_system_sgpr_workgroup_id_y 0
		.amdhsa_system_sgpr_workgroup_id_z 0
		.amdhsa_system_sgpr_workgroup_info 0
		.amdhsa_system_vgpr_workitem_id 0
		.amdhsa_next_free_vgpr 21
		.amdhsa_next_free_sgpr 47
		.amdhsa_reserve_vcc 1
		.amdhsa_reserve_flat_scratch 0
		.amdhsa_float_round_mode_32 0
		.amdhsa_float_round_mode_16_64 0
		.amdhsa_float_denorm_mode_32 3
		.amdhsa_float_denorm_mode_16_64 3
		.amdhsa_dx10_clamp 1
		.amdhsa_ieee_mode 1
		.amdhsa_fp16_overflow 0
		.amdhsa_exception_fp_ieee_invalid_op 0
		.amdhsa_exception_fp_denorm_src 0
		.amdhsa_exception_fp_ieee_div_zero 0
		.amdhsa_exception_fp_ieee_overflow 0
		.amdhsa_exception_fp_ieee_underflow 0
		.amdhsa_exception_fp_ieee_inexact 0
		.amdhsa_exception_int_div_zero 0
	.end_amdhsa_kernel
	.section	.text._ZN12_GLOBAL__N_141elementwise_kernel_with_index_grid_strideIlZZZN2at6native14range_cuda_outERKN3c106ScalarES6_S6_RNS1_6TensorEENKUlvE_clEvENKUlvE0_clEvEUllE_EEvT_T0_PN15function_traitsISD_E11result_typeE,"axG",@progbits,_ZN12_GLOBAL__N_141elementwise_kernel_with_index_grid_strideIlZZZN2at6native14range_cuda_outERKN3c106ScalarES6_S6_RNS1_6TensorEENKUlvE_clEvENKUlvE0_clEvEUllE_EEvT_T0_PN15function_traitsISD_E11result_typeE,comdat
.Lfunc_end49:
	.size	_ZN12_GLOBAL__N_141elementwise_kernel_with_index_grid_strideIlZZZN2at6native14range_cuda_outERKN3c106ScalarES6_S6_RNS1_6TensorEENKUlvE_clEvENKUlvE0_clEvEUllE_EEvT_T0_PN15function_traitsISD_E11result_typeE, .Lfunc_end49-_ZN12_GLOBAL__N_141elementwise_kernel_with_index_grid_strideIlZZZN2at6native14range_cuda_outERKN3c106ScalarES6_S6_RNS1_6TensorEENKUlvE_clEvENKUlvE0_clEvEUllE_EEvT_T0_PN15function_traitsISD_E11result_typeE
                                        ; -- End function
	.set _ZN12_GLOBAL__N_141elementwise_kernel_with_index_grid_strideIlZZZN2at6native14range_cuda_outERKN3c106ScalarES6_S6_RNS1_6TensorEENKUlvE_clEvENKUlvE0_clEvEUllE_EEvT_T0_PN15function_traitsISD_E11result_typeE.num_vgpr, 21
	.set _ZN12_GLOBAL__N_141elementwise_kernel_with_index_grid_strideIlZZZN2at6native14range_cuda_outERKN3c106ScalarES6_S6_RNS1_6TensorEENKUlvE_clEvENKUlvE0_clEvEUllE_EEvT_T0_PN15function_traitsISD_E11result_typeE.num_agpr, 0
	.set _ZN12_GLOBAL__N_141elementwise_kernel_with_index_grid_strideIlZZZN2at6native14range_cuda_outERKN3c106ScalarES6_S6_RNS1_6TensorEENKUlvE_clEvENKUlvE0_clEvEUllE_EEvT_T0_PN15function_traitsISD_E11result_typeE.numbered_sgpr, 47
	.set _ZN12_GLOBAL__N_141elementwise_kernel_with_index_grid_strideIlZZZN2at6native14range_cuda_outERKN3c106ScalarES6_S6_RNS1_6TensorEENKUlvE_clEvENKUlvE0_clEvEUllE_EEvT_T0_PN15function_traitsISD_E11result_typeE.num_named_barrier, 0
	.set _ZN12_GLOBAL__N_141elementwise_kernel_with_index_grid_strideIlZZZN2at6native14range_cuda_outERKN3c106ScalarES6_S6_RNS1_6TensorEENKUlvE_clEvENKUlvE0_clEvEUllE_EEvT_T0_PN15function_traitsISD_E11result_typeE.private_seg_size, 0
	.set _ZN12_GLOBAL__N_141elementwise_kernel_with_index_grid_strideIlZZZN2at6native14range_cuda_outERKN3c106ScalarES6_S6_RNS1_6TensorEENKUlvE_clEvENKUlvE0_clEvEUllE_EEvT_T0_PN15function_traitsISD_E11result_typeE.uses_vcc, 1
	.set _ZN12_GLOBAL__N_141elementwise_kernel_with_index_grid_strideIlZZZN2at6native14range_cuda_outERKN3c106ScalarES6_S6_RNS1_6TensorEENKUlvE_clEvENKUlvE0_clEvEUllE_EEvT_T0_PN15function_traitsISD_E11result_typeE.uses_flat_scratch, 0
	.set _ZN12_GLOBAL__N_141elementwise_kernel_with_index_grid_strideIlZZZN2at6native14range_cuda_outERKN3c106ScalarES6_S6_RNS1_6TensorEENKUlvE_clEvENKUlvE0_clEvEUllE_EEvT_T0_PN15function_traitsISD_E11result_typeE.has_dyn_sized_stack, 0
	.set _ZN12_GLOBAL__N_141elementwise_kernel_with_index_grid_strideIlZZZN2at6native14range_cuda_outERKN3c106ScalarES6_S6_RNS1_6TensorEENKUlvE_clEvENKUlvE0_clEvEUllE_EEvT_T0_PN15function_traitsISD_E11result_typeE.has_recursion, 0
	.set _ZN12_GLOBAL__N_141elementwise_kernel_with_index_grid_strideIlZZZN2at6native14range_cuda_outERKN3c106ScalarES6_S6_RNS1_6TensorEENKUlvE_clEvENKUlvE0_clEvEUllE_EEvT_T0_PN15function_traitsISD_E11result_typeE.has_indirect_call, 0
	.section	.AMDGPU.csdata,"",@progbits
; Kernel info:
; codeLenInByte = 1616
; TotalNumSgprs: 51
; NumVgprs: 21
; ScratchSize: 0
; MemoryBound: 0
; FloatMode: 240
; IeeeMode: 1
; LDSByteSize: 0 bytes/workgroup (compile time only)
; SGPRBlocks: 6
; VGPRBlocks: 5
; NumSGPRsForWavesPerEU: 51
; NumVGPRsForWavesPerEU: 21
; Occupancy: 10
; WaveLimiterHint : 0
; COMPUTE_PGM_RSRC2:SCRATCH_EN: 0
; COMPUTE_PGM_RSRC2:USER_SGPR: 6
; COMPUTE_PGM_RSRC2:TRAP_HANDLER: 0
; COMPUTE_PGM_RSRC2:TGID_X_EN: 1
; COMPUTE_PGM_RSRC2:TGID_Y_EN: 0
; COMPUTE_PGM_RSRC2:TGID_Z_EN: 0
; COMPUTE_PGM_RSRC2:TIDIG_COMP_CNT: 0
	.section	.text._ZN12_GLOBAL__N_141elementwise_kernel_with_index_grid_strideIiZZZN2at6native14range_cuda_outERKN3c106ScalarES6_S6_RNS1_6TensorEENKUlvE_clEvENKUlvE1_clEvEUllE_EEvT_T0_PN15function_traitsISD_E11result_typeE,"axG",@progbits,_ZN12_GLOBAL__N_141elementwise_kernel_with_index_grid_strideIiZZZN2at6native14range_cuda_outERKN3c106ScalarES6_S6_RNS1_6TensorEENKUlvE_clEvENKUlvE1_clEvEUllE_EEvT_T0_PN15function_traitsISD_E11result_typeE,comdat
	.globl	_ZN12_GLOBAL__N_141elementwise_kernel_with_index_grid_strideIiZZZN2at6native14range_cuda_outERKN3c106ScalarES6_S6_RNS1_6TensorEENKUlvE_clEvENKUlvE1_clEvEUllE_EEvT_T0_PN15function_traitsISD_E11result_typeE ; -- Begin function _ZN12_GLOBAL__N_141elementwise_kernel_with_index_grid_strideIiZZZN2at6native14range_cuda_outERKN3c106ScalarES6_S6_RNS1_6TensorEENKUlvE_clEvENKUlvE1_clEvEUllE_EEvT_T0_PN15function_traitsISD_E11result_typeE
	.p2align	8
	.type	_ZN12_GLOBAL__N_141elementwise_kernel_with_index_grid_strideIiZZZN2at6native14range_cuda_outERKN3c106ScalarES6_S6_RNS1_6TensorEENKUlvE_clEvENKUlvE1_clEvEUllE_EEvT_T0_PN15function_traitsISD_E11result_typeE,@function
_ZN12_GLOBAL__N_141elementwise_kernel_with_index_grid_strideIiZZZN2at6native14range_cuda_outERKN3c106ScalarES6_S6_RNS1_6TensorEENKUlvE_clEvENKUlvE1_clEvEUllE_EEvT_T0_PN15function_traitsISD_E11result_typeE: ; @_ZN12_GLOBAL__N_141elementwise_kernel_with_index_grid_strideIiZZZN2at6native14range_cuda_outERKN3c106ScalarES6_S6_RNS1_6TensorEENKUlvE_clEvENKUlvE1_clEvEUllE_EEvT_T0_PN15function_traitsISD_E11result_typeE
; %bb.0:
	s_load_dword s2, s[4:5], 0x2c
	s_load_dword s7, s[4:5], 0x0
	s_add_u32 s0, s4, 32
	s_addc_u32 s1, s5, 0
	s_waitcnt lgkmcnt(0)
	s_and_b32 s2, s2, 0xffff
	s_mul_i32 s6, s6, s2
	v_add_u32_e32 v0, s6, v0
	v_cmp_gt_i32_e32 vcc, s7, v0
	s_and_saveexec_b64 s[8:9], vcc
	s_cbranch_execz .LBB50_3
; %bb.1:
	s_load_dword s3, s[0:1], 0x0
	s_load_dwordx2 s[12:13], s[4:5], 0x18
	s_load_dwordx4 s[8:11], s[4:5], 0x8
	v_ashrrev_i32_e32 v1, 31, v0
	v_lshlrev_b64 v[1:2], 2, v[0:1]
	s_waitcnt lgkmcnt(0)
	s_mul_i32 s0, s3, s2
	s_ashr_i32 s1, s0, 31
	v_mul_lo_u32 v4, v0, s10
	v_mov_b32_e32 v3, s13
	v_add_co_u32_e32 v1, vcc, s12, v1
	s_lshl_b64 s[2:3], s[0:1], 2
	v_addc_co_u32_e32 v2, vcc, v3, v2, vcc
	v_add_u32_e32 v3, s8, v4
	s_mul_i32 s1, s0, s10
	s_mov_b64 s[4:5], 0
	v_mov_b32_e32 v4, s3
.LBB50_2:                               ; =>This Inner Loop Header: Depth=1
	global_store_dword v[1:2], v3, off
	v_add_co_u32_e32 v1, vcc, s2, v1
	v_add_u32_e32 v0, s0, v0
	v_addc_co_u32_e32 v2, vcc, v2, v4, vcc
	v_cmp_le_i32_e32 vcc, s7, v0
	s_or_b64 s[4:5], vcc, s[4:5]
	v_add_u32_e32 v3, s1, v3
	s_andn2_b64 exec, exec, s[4:5]
	s_cbranch_execnz .LBB50_2
.LBB50_3:
	s_endpgm
	.section	.rodata,"a",@progbits
	.p2align	6, 0x0
	.amdhsa_kernel _ZN12_GLOBAL__N_141elementwise_kernel_with_index_grid_strideIiZZZN2at6native14range_cuda_outERKN3c106ScalarES6_S6_RNS1_6TensorEENKUlvE_clEvENKUlvE1_clEvEUllE_EEvT_T0_PN15function_traitsISD_E11result_typeE
		.amdhsa_group_segment_fixed_size 0
		.amdhsa_private_segment_fixed_size 0
		.amdhsa_kernarg_size 288
		.amdhsa_user_sgpr_count 6
		.amdhsa_user_sgpr_private_segment_buffer 1
		.amdhsa_user_sgpr_dispatch_ptr 0
		.amdhsa_user_sgpr_queue_ptr 0
		.amdhsa_user_sgpr_kernarg_segment_ptr 1
		.amdhsa_user_sgpr_dispatch_id 0
		.amdhsa_user_sgpr_flat_scratch_init 0
		.amdhsa_user_sgpr_private_segment_size 0
		.amdhsa_uses_dynamic_stack 0
		.amdhsa_system_sgpr_private_segment_wavefront_offset 0
		.amdhsa_system_sgpr_workgroup_id_x 1
		.amdhsa_system_sgpr_workgroup_id_y 0
		.amdhsa_system_sgpr_workgroup_id_z 0
		.amdhsa_system_sgpr_workgroup_info 0
		.amdhsa_system_vgpr_workitem_id 0
		.amdhsa_next_free_vgpr 5
		.amdhsa_next_free_sgpr 14
		.amdhsa_reserve_vcc 1
		.amdhsa_reserve_flat_scratch 0
		.amdhsa_float_round_mode_32 0
		.amdhsa_float_round_mode_16_64 0
		.amdhsa_float_denorm_mode_32 3
		.amdhsa_float_denorm_mode_16_64 3
		.amdhsa_dx10_clamp 1
		.amdhsa_ieee_mode 1
		.amdhsa_fp16_overflow 0
		.amdhsa_exception_fp_ieee_invalid_op 0
		.amdhsa_exception_fp_denorm_src 0
		.amdhsa_exception_fp_ieee_div_zero 0
		.amdhsa_exception_fp_ieee_overflow 0
		.amdhsa_exception_fp_ieee_underflow 0
		.amdhsa_exception_fp_ieee_inexact 0
		.amdhsa_exception_int_div_zero 0
	.end_amdhsa_kernel
	.section	.text._ZN12_GLOBAL__N_141elementwise_kernel_with_index_grid_strideIiZZZN2at6native14range_cuda_outERKN3c106ScalarES6_S6_RNS1_6TensorEENKUlvE_clEvENKUlvE1_clEvEUllE_EEvT_T0_PN15function_traitsISD_E11result_typeE,"axG",@progbits,_ZN12_GLOBAL__N_141elementwise_kernel_with_index_grid_strideIiZZZN2at6native14range_cuda_outERKN3c106ScalarES6_S6_RNS1_6TensorEENKUlvE_clEvENKUlvE1_clEvEUllE_EEvT_T0_PN15function_traitsISD_E11result_typeE,comdat
.Lfunc_end50:
	.size	_ZN12_GLOBAL__N_141elementwise_kernel_with_index_grid_strideIiZZZN2at6native14range_cuda_outERKN3c106ScalarES6_S6_RNS1_6TensorEENKUlvE_clEvENKUlvE1_clEvEUllE_EEvT_T0_PN15function_traitsISD_E11result_typeE, .Lfunc_end50-_ZN12_GLOBAL__N_141elementwise_kernel_with_index_grid_strideIiZZZN2at6native14range_cuda_outERKN3c106ScalarES6_S6_RNS1_6TensorEENKUlvE_clEvENKUlvE1_clEvEUllE_EEvT_T0_PN15function_traitsISD_E11result_typeE
                                        ; -- End function
	.set _ZN12_GLOBAL__N_141elementwise_kernel_with_index_grid_strideIiZZZN2at6native14range_cuda_outERKN3c106ScalarES6_S6_RNS1_6TensorEENKUlvE_clEvENKUlvE1_clEvEUllE_EEvT_T0_PN15function_traitsISD_E11result_typeE.num_vgpr, 5
	.set _ZN12_GLOBAL__N_141elementwise_kernel_with_index_grid_strideIiZZZN2at6native14range_cuda_outERKN3c106ScalarES6_S6_RNS1_6TensorEENKUlvE_clEvENKUlvE1_clEvEUllE_EEvT_T0_PN15function_traitsISD_E11result_typeE.num_agpr, 0
	.set _ZN12_GLOBAL__N_141elementwise_kernel_with_index_grid_strideIiZZZN2at6native14range_cuda_outERKN3c106ScalarES6_S6_RNS1_6TensorEENKUlvE_clEvENKUlvE1_clEvEUllE_EEvT_T0_PN15function_traitsISD_E11result_typeE.numbered_sgpr, 14
	.set _ZN12_GLOBAL__N_141elementwise_kernel_with_index_grid_strideIiZZZN2at6native14range_cuda_outERKN3c106ScalarES6_S6_RNS1_6TensorEENKUlvE_clEvENKUlvE1_clEvEUllE_EEvT_T0_PN15function_traitsISD_E11result_typeE.num_named_barrier, 0
	.set _ZN12_GLOBAL__N_141elementwise_kernel_with_index_grid_strideIiZZZN2at6native14range_cuda_outERKN3c106ScalarES6_S6_RNS1_6TensorEENKUlvE_clEvENKUlvE1_clEvEUllE_EEvT_T0_PN15function_traitsISD_E11result_typeE.private_seg_size, 0
	.set _ZN12_GLOBAL__N_141elementwise_kernel_with_index_grid_strideIiZZZN2at6native14range_cuda_outERKN3c106ScalarES6_S6_RNS1_6TensorEENKUlvE_clEvENKUlvE1_clEvEUllE_EEvT_T0_PN15function_traitsISD_E11result_typeE.uses_vcc, 1
	.set _ZN12_GLOBAL__N_141elementwise_kernel_with_index_grid_strideIiZZZN2at6native14range_cuda_outERKN3c106ScalarES6_S6_RNS1_6TensorEENKUlvE_clEvENKUlvE1_clEvEUllE_EEvT_T0_PN15function_traitsISD_E11result_typeE.uses_flat_scratch, 0
	.set _ZN12_GLOBAL__N_141elementwise_kernel_with_index_grid_strideIiZZZN2at6native14range_cuda_outERKN3c106ScalarES6_S6_RNS1_6TensorEENKUlvE_clEvENKUlvE1_clEvEUllE_EEvT_T0_PN15function_traitsISD_E11result_typeE.has_dyn_sized_stack, 0
	.set _ZN12_GLOBAL__N_141elementwise_kernel_with_index_grid_strideIiZZZN2at6native14range_cuda_outERKN3c106ScalarES6_S6_RNS1_6TensorEENKUlvE_clEvENKUlvE1_clEvEUllE_EEvT_T0_PN15function_traitsISD_E11result_typeE.has_recursion, 0
	.set _ZN12_GLOBAL__N_141elementwise_kernel_with_index_grid_strideIiZZZN2at6native14range_cuda_outERKN3c106ScalarES6_S6_RNS1_6TensorEENKUlvE_clEvENKUlvE1_clEvEUllE_EEvT_T0_PN15function_traitsISD_E11result_typeE.has_indirect_call, 0
	.section	.AMDGPU.csdata,"",@progbits
; Kernel info:
; codeLenInByte = 188
; TotalNumSgprs: 18
; NumVgprs: 5
; ScratchSize: 0
; MemoryBound: 0
; FloatMode: 240
; IeeeMode: 1
; LDSByteSize: 0 bytes/workgroup (compile time only)
; SGPRBlocks: 2
; VGPRBlocks: 1
; NumSGPRsForWavesPerEU: 18
; NumVGPRsForWavesPerEU: 5
; Occupancy: 10
; WaveLimiterHint : 0
; COMPUTE_PGM_RSRC2:SCRATCH_EN: 0
; COMPUTE_PGM_RSRC2:USER_SGPR: 6
; COMPUTE_PGM_RSRC2:TRAP_HANDLER: 0
; COMPUTE_PGM_RSRC2:TGID_X_EN: 1
; COMPUTE_PGM_RSRC2:TGID_Y_EN: 0
; COMPUTE_PGM_RSRC2:TGID_Z_EN: 0
; COMPUTE_PGM_RSRC2:TIDIG_COMP_CNT: 0
	.section	.text._ZN12_GLOBAL__N_141elementwise_kernel_with_index_grid_strideIlZZZN2at6native14range_cuda_outERKN3c106ScalarES6_S6_RNS1_6TensorEENKUlvE_clEvENKUlvE1_clEvEUllE_EEvT_T0_PN15function_traitsISD_E11result_typeE,"axG",@progbits,_ZN12_GLOBAL__N_141elementwise_kernel_with_index_grid_strideIlZZZN2at6native14range_cuda_outERKN3c106ScalarES6_S6_RNS1_6TensorEENKUlvE_clEvENKUlvE1_clEvEUllE_EEvT_T0_PN15function_traitsISD_E11result_typeE,comdat
	.globl	_ZN12_GLOBAL__N_141elementwise_kernel_with_index_grid_strideIlZZZN2at6native14range_cuda_outERKN3c106ScalarES6_S6_RNS1_6TensorEENKUlvE_clEvENKUlvE1_clEvEUllE_EEvT_T0_PN15function_traitsISD_E11result_typeE ; -- Begin function _ZN12_GLOBAL__N_141elementwise_kernel_with_index_grid_strideIlZZZN2at6native14range_cuda_outERKN3c106ScalarES6_S6_RNS1_6TensorEENKUlvE_clEvENKUlvE1_clEvEUllE_EEvT_T0_PN15function_traitsISD_E11result_typeE
	.p2align	8
	.type	_ZN12_GLOBAL__N_141elementwise_kernel_with_index_grid_strideIlZZZN2at6native14range_cuda_outERKN3c106ScalarES6_S6_RNS1_6TensorEENKUlvE_clEvENKUlvE1_clEvEUllE_EEvT_T0_PN15function_traitsISD_E11result_typeE,@function
_ZN12_GLOBAL__N_141elementwise_kernel_with_index_grid_strideIlZZZN2at6native14range_cuda_outERKN3c106ScalarES6_S6_RNS1_6TensorEENKUlvE_clEvENKUlvE1_clEvEUllE_EEvT_T0_PN15function_traitsISD_E11result_typeE: ; @_ZN12_GLOBAL__N_141elementwise_kernel_with_index_grid_strideIlZZZN2at6native14range_cuda_outERKN3c106ScalarES6_S6_RNS1_6TensorEENKUlvE_clEvENKUlvE1_clEvEUllE_EEvT_T0_PN15function_traitsISD_E11result_typeE
; %bb.0:
	s_load_dword s2, s[4:5], 0x2c
	s_load_dwordx8 s[8:15], s[4:5], 0x0
	s_add_u32 s0, s4, 32
	s_addc_u32 s1, s5, 0
	v_mov_b32_e32 v1, 0
	s_waitcnt lgkmcnt(0)
	s_and_b32 s2, s2, 0xffff
	v_mov_b32_e32 v2, s6
	v_mad_u64_u32 v[1:2], s[4:5], s2, v2, v[0:1]
	v_cmp_gt_i64_e32 vcc, s[8:9], v[1:2]
	s_and_saveexec_b64 s[4:5], vcc
	s_cbranch_execz .LBB51_3
; %bb.1:
	s_load_dword s0, s[0:1], 0x0
	s_mul_i32 s6, s6, s2
	v_add_u32_e32 v0, s6, v0
	v_mul_lo_u32 v0, v0, s12
	v_lshlrev_b64 v[3:4], 2, v[1:2]
	s_waitcnt lgkmcnt(0)
	s_mul_hi_u32 s3, s2, s0
	s_mul_i32 s2, s2, s0
	v_mov_b32_e32 v5, s15
	v_add_co_u32_e32 v3, vcc, s14, v3
	s_lshl_b64 s[4:5], s[2:3], 2
	v_add_u32_e32 v0, s10, v0
	s_mul_i32 s10, s2, s12
	v_addc_co_u32_e32 v4, vcc, v5, v4, vcc
	s_mov_b64 s[6:7], 0
	v_mov_b32_e32 v5, s3
	v_mov_b32_e32 v6, s5
.LBB51_2:                               ; =>This Inner Loop Header: Depth=1
	v_add_co_u32_e32 v1, vcc, s2, v1
	v_addc_co_u32_e32 v2, vcc, v2, v5, vcc
	v_cmp_le_i64_e64 s[0:1], s[8:9], v[1:2]
	global_store_dword v[3:4], v0, off
	v_add_co_u32_e32 v3, vcc, s4, v3
	v_add_u32_e32 v0, s10, v0
	s_or_b64 s[6:7], s[0:1], s[6:7]
	v_addc_co_u32_e32 v4, vcc, v4, v6, vcc
	s_andn2_b64 exec, exec, s[6:7]
	s_cbranch_execnz .LBB51_2
.LBB51_3:
	s_endpgm
	.section	.rodata,"a",@progbits
	.p2align	6, 0x0
	.amdhsa_kernel _ZN12_GLOBAL__N_141elementwise_kernel_with_index_grid_strideIlZZZN2at6native14range_cuda_outERKN3c106ScalarES6_S6_RNS1_6TensorEENKUlvE_clEvENKUlvE1_clEvEUllE_EEvT_T0_PN15function_traitsISD_E11result_typeE
		.amdhsa_group_segment_fixed_size 0
		.amdhsa_private_segment_fixed_size 0
		.amdhsa_kernarg_size 288
		.amdhsa_user_sgpr_count 6
		.amdhsa_user_sgpr_private_segment_buffer 1
		.amdhsa_user_sgpr_dispatch_ptr 0
		.amdhsa_user_sgpr_queue_ptr 0
		.amdhsa_user_sgpr_kernarg_segment_ptr 1
		.amdhsa_user_sgpr_dispatch_id 0
		.amdhsa_user_sgpr_flat_scratch_init 0
		.amdhsa_user_sgpr_private_segment_size 0
		.amdhsa_uses_dynamic_stack 0
		.amdhsa_system_sgpr_private_segment_wavefront_offset 0
		.amdhsa_system_sgpr_workgroup_id_x 1
		.amdhsa_system_sgpr_workgroup_id_y 0
		.amdhsa_system_sgpr_workgroup_id_z 0
		.amdhsa_system_sgpr_workgroup_info 0
		.amdhsa_system_vgpr_workitem_id 0
		.amdhsa_next_free_vgpr 7
		.amdhsa_next_free_sgpr 16
		.amdhsa_reserve_vcc 1
		.amdhsa_reserve_flat_scratch 0
		.amdhsa_float_round_mode_32 0
		.amdhsa_float_round_mode_16_64 0
		.amdhsa_float_denorm_mode_32 3
		.amdhsa_float_denorm_mode_16_64 3
		.amdhsa_dx10_clamp 1
		.amdhsa_ieee_mode 1
		.amdhsa_fp16_overflow 0
		.amdhsa_exception_fp_ieee_invalid_op 0
		.amdhsa_exception_fp_denorm_src 0
		.amdhsa_exception_fp_ieee_div_zero 0
		.amdhsa_exception_fp_ieee_overflow 0
		.amdhsa_exception_fp_ieee_underflow 0
		.amdhsa_exception_fp_ieee_inexact 0
		.amdhsa_exception_int_div_zero 0
	.end_amdhsa_kernel
	.section	.text._ZN12_GLOBAL__N_141elementwise_kernel_with_index_grid_strideIlZZZN2at6native14range_cuda_outERKN3c106ScalarES6_S6_RNS1_6TensorEENKUlvE_clEvENKUlvE1_clEvEUllE_EEvT_T0_PN15function_traitsISD_E11result_typeE,"axG",@progbits,_ZN12_GLOBAL__N_141elementwise_kernel_with_index_grid_strideIlZZZN2at6native14range_cuda_outERKN3c106ScalarES6_S6_RNS1_6TensorEENKUlvE_clEvENKUlvE1_clEvEUllE_EEvT_T0_PN15function_traitsISD_E11result_typeE,comdat
.Lfunc_end51:
	.size	_ZN12_GLOBAL__N_141elementwise_kernel_with_index_grid_strideIlZZZN2at6native14range_cuda_outERKN3c106ScalarES6_S6_RNS1_6TensorEENKUlvE_clEvENKUlvE1_clEvEUllE_EEvT_T0_PN15function_traitsISD_E11result_typeE, .Lfunc_end51-_ZN12_GLOBAL__N_141elementwise_kernel_with_index_grid_strideIlZZZN2at6native14range_cuda_outERKN3c106ScalarES6_S6_RNS1_6TensorEENKUlvE_clEvENKUlvE1_clEvEUllE_EEvT_T0_PN15function_traitsISD_E11result_typeE
                                        ; -- End function
	.set _ZN12_GLOBAL__N_141elementwise_kernel_with_index_grid_strideIlZZZN2at6native14range_cuda_outERKN3c106ScalarES6_S6_RNS1_6TensorEENKUlvE_clEvENKUlvE1_clEvEUllE_EEvT_T0_PN15function_traitsISD_E11result_typeE.num_vgpr, 7
	.set _ZN12_GLOBAL__N_141elementwise_kernel_with_index_grid_strideIlZZZN2at6native14range_cuda_outERKN3c106ScalarES6_S6_RNS1_6TensorEENKUlvE_clEvENKUlvE1_clEvEUllE_EEvT_T0_PN15function_traitsISD_E11result_typeE.num_agpr, 0
	.set _ZN12_GLOBAL__N_141elementwise_kernel_with_index_grid_strideIlZZZN2at6native14range_cuda_outERKN3c106ScalarES6_S6_RNS1_6TensorEENKUlvE_clEvENKUlvE1_clEvEUllE_EEvT_T0_PN15function_traitsISD_E11result_typeE.numbered_sgpr, 16
	.set _ZN12_GLOBAL__N_141elementwise_kernel_with_index_grid_strideIlZZZN2at6native14range_cuda_outERKN3c106ScalarES6_S6_RNS1_6TensorEENKUlvE_clEvENKUlvE1_clEvEUllE_EEvT_T0_PN15function_traitsISD_E11result_typeE.num_named_barrier, 0
	.set _ZN12_GLOBAL__N_141elementwise_kernel_with_index_grid_strideIlZZZN2at6native14range_cuda_outERKN3c106ScalarES6_S6_RNS1_6TensorEENKUlvE_clEvENKUlvE1_clEvEUllE_EEvT_T0_PN15function_traitsISD_E11result_typeE.private_seg_size, 0
	.set _ZN12_GLOBAL__N_141elementwise_kernel_with_index_grid_strideIlZZZN2at6native14range_cuda_outERKN3c106ScalarES6_S6_RNS1_6TensorEENKUlvE_clEvENKUlvE1_clEvEUllE_EEvT_T0_PN15function_traitsISD_E11result_typeE.uses_vcc, 1
	.set _ZN12_GLOBAL__N_141elementwise_kernel_with_index_grid_strideIlZZZN2at6native14range_cuda_outERKN3c106ScalarES6_S6_RNS1_6TensorEENKUlvE_clEvENKUlvE1_clEvEUllE_EEvT_T0_PN15function_traitsISD_E11result_typeE.uses_flat_scratch, 0
	.set _ZN12_GLOBAL__N_141elementwise_kernel_with_index_grid_strideIlZZZN2at6native14range_cuda_outERKN3c106ScalarES6_S6_RNS1_6TensorEENKUlvE_clEvENKUlvE1_clEvEUllE_EEvT_T0_PN15function_traitsISD_E11result_typeE.has_dyn_sized_stack, 0
	.set _ZN12_GLOBAL__N_141elementwise_kernel_with_index_grid_strideIlZZZN2at6native14range_cuda_outERKN3c106ScalarES6_S6_RNS1_6TensorEENKUlvE_clEvENKUlvE1_clEvEUllE_EEvT_T0_PN15function_traitsISD_E11result_typeE.has_recursion, 0
	.set _ZN12_GLOBAL__N_141elementwise_kernel_with_index_grid_strideIlZZZN2at6native14range_cuda_outERKN3c106ScalarES6_S6_RNS1_6TensorEENKUlvE_clEvENKUlvE1_clEvEUllE_EEvT_T0_PN15function_traitsISD_E11result_typeE.has_indirect_call, 0
	.section	.AMDGPU.csdata,"",@progbits
; Kernel info:
; codeLenInByte = 196
; TotalNumSgprs: 20
; NumVgprs: 7
; ScratchSize: 0
; MemoryBound: 0
; FloatMode: 240
; IeeeMode: 1
; LDSByteSize: 0 bytes/workgroup (compile time only)
; SGPRBlocks: 2
; VGPRBlocks: 1
; NumSGPRsForWavesPerEU: 20
; NumVGPRsForWavesPerEU: 7
; Occupancy: 10
; WaveLimiterHint : 0
; COMPUTE_PGM_RSRC2:SCRATCH_EN: 0
; COMPUTE_PGM_RSRC2:USER_SGPR: 6
; COMPUTE_PGM_RSRC2:TRAP_HANDLER: 0
; COMPUTE_PGM_RSRC2:TGID_X_EN: 1
; COMPUTE_PGM_RSRC2:TGID_Y_EN: 0
; COMPUTE_PGM_RSRC2:TGID_Z_EN: 0
; COMPUTE_PGM_RSRC2:TIDIG_COMP_CNT: 0
	.section	.text._ZN12_GLOBAL__N_141elementwise_kernel_with_index_grid_strideIiZZZN2at6native14range_cuda_outERKN3c106ScalarES6_S6_RNS1_6TensorEENKUlvE_clEvENKUlvE2_clEvEUllE_EEvT_T0_PN15function_traitsISD_E11result_typeE,"axG",@progbits,_ZN12_GLOBAL__N_141elementwise_kernel_with_index_grid_strideIiZZZN2at6native14range_cuda_outERKN3c106ScalarES6_S6_RNS1_6TensorEENKUlvE_clEvENKUlvE2_clEvEUllE_EEvT_T0_PN15function_traitsISD_E11result_typeE,comdat
	.globl	_ZN12_GLOBAL__N_141elementwise_kernel_with_index_grid_strideIiZZZN2at6native14range_cuda_outERKN3c106ScalarES6_S6_RNS1_6TensorEENKUlvE_clEvENKUlvE2_clEvEUllE_EEvT_T0_PN15function_traitsISD_E11result_typeE ; -- Begin function _ZN12_GLOBAL__N_141elementwise_kernel_with_index_grid_strideIiZZZN2at6native14range_cuda_outERKN3c106ScalarES6_S6_RNS1_6TensorEENKUlvE_clEvENKUlvE2_clEvEUllE_EEvT_T0_PN15function_traitsISD_E11result_typeE
	.p2align	8
	.type	_ZN12_GLOBAL__N_141elementwise_kernel_with_index_grid_strideIiZZZN2at6native14range_cuda_outERKN3c106ScalarES6_S6_RNS1_6TensorEENKUlvE_clEvENKUlvE2_clEvEUllE_EEvT_T0_PN15function_traitsISD_E11result_typeE,@function
_ZN12_GLOBAL__N_141elementwise_kernel_with_index_grid_strideIiZZZN2at6native14range_cuda_outERKN3c106ScalarES6_S6_RNS1_6TensorEENKUlvE_clEvENKUlvE2_clEvEUllE_EEvT_T0_PN15function_traitsISD_E11result_typeE: ; @_ZN12_GLOBAL__N_141elementwise_kernel_with_index_grid_strideIiZZZN2at6native14range_cuda_outERKN3c106ScalarES6_S6_RNS1_6TensorEENKUlvE_clEvENKUlvE2_clEvEUllE_EEvT_T0_PN15function_traitsISD_E11result_typeE
; %bb.0:
	s_load_dword s2, s[4:5], 0x2c
	s_load_dword s8, s[4:5], 0x0
	s_add_u32 s0, s4, 32
	s_addc_u32 s1, s5, 0
	s_waitcnt lgkmcnt(0)
	s_and_b32 s2, s2, 0xffff
	s_mul_i32 s6, s6, s2
	v_add_u32_e32 v0, s6, v0
	v_cmp_gt_i32_e32 vcc, s8, v0
	s_and_saveexec_b64 s[6:7], vcc
	s_cbranch_execz .LBB52_3
; %bb.1:
	s_load_dwordx4 s[12:15], s[4:5], 0x8
	s_load_dword s3, s[0:1], 0x0
	s_load_dwordx2 s[6:7], s[4:5], 0x18
	v_ashrrev_i32_e32 v1, 31, v0
	v_lshlrev_b64 v[4:5], 3, v[0:1]
	s_waitcnt lgkmcnt(0)
	v_mov_b32_e32 v2, s12
	v_mov_b32_e32 v3, s13
	s_mul_i32 s2, s3, s2
	v_mul_lo_u32 v7, s15, v0
	v_mul_lo_u32 v8, s14, v1
	v_mad_u64_u32 v[1:2], s[0:1], s14, v0, v[2:3]
	s_ashr_i32 s3, s2, 31
	s_mul_i32 s0, s14, s3
	s_mul_hi_u32 s1, s14, s2
	s_add_i32 s0, s1, s0
	s_mul_i32 s1, s15, s2
	v_mov_b32_e32 v6, s7
	v_add_co_u32_e32 v3, vcc, s6, v4
	s_lshl_b64 s[4:5], s[2:3], 3
	s_add_i32 s0, s0, s1
	v_addc_co_u32_e32 v4, vcc, v6, v5, vcc
	v_add3_u32 v2, v7, v2, v8
	s_mul_i32 s3, s14, s2
	s_mov_b64 s[6:7], 0
	v_mov_b32_e32 v5, s5
	v_mov_b32_e32 v6, s0
.LBB52_2:                               ; =>This Inner Loop Header: Depth=1
	global_store_dwordx2 v[3:4], v[1:2], off
	v_add_co_u32_e32 v3, vcc, s4, v3
	v_add_u32_e32 v0, s2, v0
	v_addc_co_u32_e32 v4, vcc, v4, v5, vcc
	v_add_co_u32_e32 v1, vcc, s3, v1
	v_cmp_le_i32_e64 s[0:1], s8, v0
	s_or_b64 s[6:7], s[0:1], s[6:7]
	v_addc_co_u32_e32 v2, vcc, v2, v6, vcc
	s_andn2_b64 exec, exec, s[6:7]
	s_cbranch_execnz .LBB52_2
.LBB52_3:
	s_endpgm
	.section	.rodata,"a",@progbits
	.p2align	6, 0x0
	.amdhsa_kernel _ZN12_GLOBAL__N_141elementwise_kernel_with_index_grid_strideIiZZZN2at6native14range_cuda_outERKN3c106ScalarES6_S6_RNS1_6TensorEENKUlvE_clEvENKUlvE2_clEvEUllE_EEvT_T0_PN15function_traitsISD_E11result_typeE
		.amdhsa_group_segment_fixed_size 0
		.amdhsa_private_segment_fixed_size 0
		.amdhsa_kernarg_size 288
		.amdhsa_user_sgpr_count 6
		.amdhsa_user_sgpr_private_segment_buffer 1
		.amdhsa_user_sgpr_dispatch_ptr 0
		.amdhsa_user_sgpr_queue_ptr 0
		.amdhsa_user_sgpr_kernarg_segment_ptr 1
		.amdhsa_user_sgpr_dispatch_id 0
		.amdhsa_user_sgpr_flat_scratch_init 0
		.amdhsa_user_sgpr_private_segment_size 0
		.amdhsa_uses_dynamic_stack 0
		.amdhsa_system_sgpr_private_segment_wavefront_offset 0
		.amdhsa_system_sgpr_workgroup_id_x 1
		.amdhsa_system_sgpr_workgroup_id_y 0
		.amdhsa_system_sgpr_workgroup_id_z 0
		.amdhsa_system_sgpr_workgroup_info 0
		.amdhsa_system_vgpr_workitem_id 0
		.amdhsa_next_free_vgpr 9
		.amdhsa_next_free_sgpr 16
		.amdhsa_reserve_vcc 1
		.amdhsa_reserve_flat_scratch 0
		.amdhsa_float_round_mode_32 0
		.amdhsa_float_round_mode_16_64 0
		.amdhsa_float_denorm_mode_32 3
		.amdhsa_float_denorm_mode_16_64 3
		.amdhsa_dx10_clamp 1
		.amdhsa_ieee_mode 1
		.amdhsa_fp16_overflow 0
		.amdhsa_exception_fp_ieee_invalid_op 0
		.amdhsa_exception_fp_denorm_src 0
		.amdhsa_exception_fp_ieee_div_zero 0
		.amdhsa_exception_fp_ieee_overflow 0
		.amdhsa_exception_fp_ieee_underflow 0
		.amdhsa_exception_fp_ieee_inexact 0
		.amdhsa_exception_int_div_zero 0
	.end_amdhsa_kernel
	.section	.text._ZN12_GLOBAL__N_141elementwise_kernel_with_index_grid_strideIiZZZN2at6native14range_cuda_outERKN3c106ScalarES6_S6_RNS1_6TensorEENKUlvE_clEvENKUlvE2_clEvEUllE_EEvT_T0_PN15function_traitsISD_E11result_typeE,"axG",@progbits,_ZN12_GLOBAL__N_141elementwise_kernel_with_index_grid_strideIiZZZN2at6native14range_cuda_outERKN3c106ScalarES6_S6_RNS1_6TensorEENKUlvE_clEvENKUlvE2_clEvEUllE_EEvT_T0_PN15function_traitsISD_E11result_typeE,comdat
.Lfunc_end52:
	.size	_ZN12_GLOBAL__N_141elementwise_kernel_with_index_grid_strideIiZZZN2at6native14range_cuda_outERKN3c106ScalarES6_S6_RNS1_6TensorEENKUlvE_clEvENKUlvE2_clEvEUllE_EEvT_T0_PN15function_traitsISD_E11result_typeE, .Lfunc_end52-_ZN12_GLOBAL__N_141elementwise_kernel_with_index_grid_strideIiZZZN2at6native14range_cuda_outERKN3c106ScalarES6_S6_RNS1_6TensorEENKUlvE_clEvENKUlvE2_clEvEUllE_EEvT_T0_PN15function_traitsISD_E11result_typeE
                                        ; -- End function
	.set _ZN12_GLOBAL__N_141elementwise_kernel_with_index_grid_strideIiZZZN2at6native14range_cuda_outERKN3c106ScalarES6_S6_RNS1_6TensorEENKUlvE_clEvENKUlvE2_clEvEUllE_EEvT_T0_PN15function_traitsISD_E11result_typeE.num_vgpr, 9
	.set _ZN12_GLOBAL__N_141elementwise_kernel_with_index_grid_strideIiZZZN2at6native14range_cuda_outERKN3c106ScalarES6_S6_RNS1_6TensorEENKUlvE_clEvENKUlvE2_clEvEUllE_EEvT_T0_PN15function_traitsISD_E11result_typeE.num_agpr, 0
	.set _ZN12_GLOBAL__N_141elementwise_kernel_with_index_grid_strideIiZZZN2at6native14range_cuda_outERKN3c106ScalarES6_S6_RNS1_6TensorEENKUlvE_clEvENKUlvE2_clEvEUllE_EEvT_T0_PN15function_traitsISD_E11result_typeE.numbered_sgpr, 16
	.set _ZN12_GLOBAL__N_141elementwise_kernel_with_index_grid_strideIiZZZN2at6native14range_cuda_outERKN3c106ScalarES6_S6_RNS1_6TensorEENKUlvE_clEvENKUlvE2_clEvEUllE_EEvT_T0_PN15function_traitsISD_E11result_typeE.num_named_barrier, 0
	.set _ZN12_GLOBAL__N_141elementwise_kernel_with_index_grid_strideIiZZZN2at6native14range_cuda_outERKN3c106ScalarES6_S6_RNS1_6TensorEENKUlvE_clEvENKUlvE2_clEvEUllE_EEvT_T0_PN15function_traitsISD_E11result_typeE.private_seg_size, 0
	.set _ZN12_GLOBAL__N_141elementwise_kernel_with_index_grid_strideIiZZZN2at6native14range_cuda_outERKN3c106ScalarES6_S6_RNS1_6TensorEENKUlvE_clEvENKUlvE2_clEvEUllE_EEvT_T0_PN15function_traitsISD_E11result_typeE.uses_vcc, 1
	.set _ZN12_GLOBAL__N_141elementwise_kernel_with_index_grid_strideIiZZZN2at6native14range_cuda_outERKN3c106ScalarES6_S6_RNS1_6TensorEENKUlvE_clEvENKUlvE2_clEvEUllE_EEvT_T0_PN15function_traitsISD_E11result_typeE.uses_flat_scratch, 0
	.set _ZN12_GLOBAL__N_141elementwise_kernel_with_index_grid_strideIiZZZN2at6native14range_cuda_outERKN3c106ScalarES6_S6_RNS1_6TensorEENKUlvE_clEvENKUlvE2_clEvEUllE_EEvT_T0_PN15function_traitsISD_E11result_typeE.has_dyn_sized_stack, 0
	.set _ZN12_GLOBAL__N_141elementwise_kernel_with_index_grid_strideIiZZZN2at6native14range_cuda_outERKN3c106ScalarES6_S6_RNS1_6TensorEENKUlvE_clEvENKUlvE2_clEvEUllE_EEvT_T0_PN15function_traitsISD_E11result_typeE.has_recursion, 0
	.set _ZN12_GLOBAL__N_141elementwise_kernel_with_index_grid_strideIiZZZN2at6native14range_cuda_outERKN3c106ScalarES6_S6_RNS1_6TensorEENKUlvE_clEvENKUlvE2_clEvEUllE_EEvT_T0_PN15function_traitsISD_E11result_typeE.has_indirect_call, 0
	.section	.AMDGPU.csdata,"",@progbits
; Kernel info:
; codeLenInByte = 248
; TotalNumSgprs: 20
; NumVgprs: 9
; ScratchSize: 0
; MemoryBound: 0
; FloatMode: 240
; IeeeMode: 1
; LDSByteSize: 0 bytes/workgroup (compile time only)
; SGPRBlocks: 2
; VGPRBlocks: 2
; NumSGPRsForWavesPerEU: 20
; NumVGPRsForWavesPerEU: 9
; Occupancy: 10
; WaveLimiterHint : 0
; COMPUTE_PGM_RSRC2:SCRATCH_EN: 0
; COMPUTE_PGM_RSRC2:USER_SGPR: 6
; COMPUTE_PGM_RSRC2:TRAP_HANDLER: 0
; COMPUTE_PGM_RSRC2:TGID_X_EN: 1
; COMPUTE_PGM_RSRC2:TGID_Y_EN: 0
; COMPUTE_PGM_RSRC2:TGID_Z_EN: 0
; COMPUTE_PGM_RSRC2:TIDIG_COMP_CNT: 0
	.section	.text._ZN12_GLOBAL__N_141elementwise_kernel_with_index_grid_strideIlZZZN2at6native14range_cuda_outERKN3c106ScalarES6_S6_RNS1_6TensorEENKUlvE_clEvENKUlvE2_clEvEUllE_EEvT_T0_PN15function_traitsISD_E11result_typeE,"axG",@progbits,_ZN12_GLOBAL__N_141elementwise_kernel_with_index_grid_strideIlZZZN2at6native14range_cuda_outERKN3c106ScalarES6_S6_RNS1_6TensorEENKUlvE_clEvENKUlvE2_clEvEUllE_EEvT_T0_PN15function_traitsISD_E11result_typeE,comdat
	.globl	_ZN12_GLOBAL__N_141elementwise_kernel_with_index_grid_strideIlZZZN2at6native14range_cuda_outERKN3c106ScalarES6_S6_RNS1_6TensorEENKUlvE_clEvENKUlvE2_clEvEUllE_EEvT_T0_PN15function_traitsISD_E11result_typeE ; -- Begin function _ZN12_GLOBAL__N_141elementwise_kernel_with_index_grid_strideIlZZZN2at6native14range_cuda_outERKN3c106ScalarES6_S6_RNS1_6TensorEENKUlvE_clEvENKUlvE2_clEvEUllE_EEvT_T0_PN15function_traitsISD_E11result_typeE
	.p2align	8
	.type	_ZN12_GLOBAL__N_141elementwise_kernel_with_index_grid_strideIlZZZN2at6native14range_cuda_outERKN3c106ScalarES6_S6_RNS1_6TensorEENKUlvE_clEvENKUlvE2_clEvEUllE_EEvT_T0_PN15function_traitsISD_E11result_typeE,@function
_ZN12_GLOBAL__N_141elementwise_kernel_with_index_grid_strideIlZZZN2at6native14range_cuda_outERKN3c106ScalarES6_S6_RNS1_6TensorEENKUlvE_clEvENKUlvE2_clEvEUllE_EEvT_T0_PN15function_traitsISD_E11result_typeE: ; @_ZN12_GLOBAL__N_141elementwise_kernel_with_index_grid_strideIlZZZN2at6native14range_cuda_outERKN3c106ScalarES6_S6_RNS1_6TensorEENKUlvE_clEvENKUlvE2_clEvEUllE_EEvT_T0_PN15function_traitsISD_E11result_typeE
; %bb.0:
	s_load_dword s2, s[4:5], 0x2c
	s_load_dwordx8 s[8:15], s[4:5], 0x0
	s_add_u32 s0, s4, 32
	s_addc_u32 s1, s5, 0
	v_mov_b32_e32 v1, 0
	s_waitcnt lgkmcnt(0)
	s_and_b32 s2, s2, 0xffff
	v_mov_b32_e32 v2, s6
	v_mad_u64_u32 v[0:1], s[4:5], s2, v2, v[0:1]
	v_cmp_gt_i64_e32 vcc, s[8:9], v[0:1]
	s_and_saveexec_b64 s[4:5], vcc
	s_cbranch_execz .LBB53_3
; %bb.1:
	s_load_dword s4, s[0:1], 0x0
	v_mov_b32_e32 v2, s10
	v_mov_b32_e32 v3, s11
	v_mul_lo_u32 v4, s12, v1
	v_mul_lo_u32 v5, s13, v0
	v_mad_u64_u32 v[2:3], s[0:1], s12, v0, v[2:3]
	s_waitcnt lgkmcnt(0)
	s_mul_hi_u32 s3, s2, s4
	s_mul_i32 s2, s2, s4
	v_add3_u32 v3, v5, v3, v4
	s_mul_i32 s0, s2, s13
	s_mul_hi_u32 s1, s2, s12
	v_lshlrev_b64 v[4:5], 3, v[0:1]
	s_add_i32 s0, s1, s0
	s_mul_i32 s1, s3, s12
	s_add_i32 s0, s0, s1
	v_mov_b32_e32 v6, s15
	v_add_co_u32_e32 v4, vcc, s14, v4
	s_lshl_b64 s[4:5], s[2:3], 3
	s_mul_i32 s10, s2, s12
	v_addc_co_u32_e32 v5, vcc, v6, v5, vcc
	s_mov_b64 s[6:7], 0
	v_mov_b32_e32 v6, s3
	v_mov_b32_e32 v7, s0
	;; [unrolled: 1-line block ×3, first 2 shown]
.LBB53_2:                               ; =>This Inner Loop Header: Depth=1
	v_add_co_u32_e32 v0, vcc, s2, v0
	v_addc_co_u32_e32 v1, vcc, v1, v6, vcc
	global_store_dwordx2 v[4:5], v[2:3], off
	v_add_co_u32_e32 v2, vcc, s10, v2
	v_addc_co_u32_e32 v3, vcc, v3, v7, vcc
	v_cmp_le_i64_e64 s[0:1], s[8:9], v[0:1]
	v_add_co_u32_e32 v4, vcc, s4, v4
	s_or_b64 s[6:7], s[0:1], s[6:7]
	v_addc_co_u32_e32 v5, vcc, v5, v8, vcc
	s_andn2_b64 exec, exec, s[6:7]
	s_cbranch_execnz .LBB53_2
.LBB53_3:
	s_endpgm
	.section	.rodata,"a",@progbits
	.p2align	6, 0x0
	.amdhsa_kernel _ZN12_GLOBAL__N_141elementwise_kernel_with_index_grid_strideIlZZZN2at6native14range_cuda_outERKN3c106ScalarES6_S6_RNS1_6TensorEENKUlvE_clEvENKUlvE2_clEvEUllE_EEvT_T0_PN15function_traitsISD_E11result_typeE
		.amdhsa_group_segment_fixed_size 0
		.amdhsa_private_segment_fixed_size 0
		.amdhsa_kernarg_size 288
		.amdhsa_user_sgpr_count 6
		.amdhsa_user_sgpr_private_segment_buffer 1
		.amdhsa_user_sgpr_dispatch_ptr 0
		.amdhsa_user_sgpr_queue_ptr 0
		.amdhsa_user_sgpr_kernarg_segment_ptr 1
		.amdhsa_user_sgpr_dispatch_id 0
		.amdhsa_user_sgpr_flat_scratch_init 0
		.amdhsa_user_sgpr_private_segment_size 0
		.amdhsa_uses_dynamic_stack 0
		.amdhsa_system_sgpr_private_segment_wavefront_offset 0
		.amdhsa_system_sgpr_workgroup_id_x 1
		.amdhsa_system_sgpr_workgroup_id_y 0
		.amdhsa_system_sgpr_workgroup_id_z 0
		.amdhsa_system_sgpr_workgroup_info 0
		.amdhsa_system_vgpr_workitem_id 0
		.amdhsa_next_free_vgpr 9
		.amdhsa_next_free_sgpr 16
		.amdhsa_reserve_vcc 1
		.amdhsa_reserve_flat_scratch 0
		.amdhsa_float_round_mode_32 0
		.amdhsa_float_round_mode_16_64 0
		.amdhsa_float_denorm_mode_32 3
		.amdhsa_float_denorm_mode_16_64 3
		.amdhsa_dx10_clamp 1
		.amdhsa_ieee_mode 1
		.amdhsa_fp16_overflow 0
		.amdhsa_exception_fp_ieee_invalid_op 0
		.amdhsa_exception_fp_denorm_src 0
		.amdhsa_exception_fp_ieee_div_zero 0
		.amdhsa_exception_fp_ieee_overflow 0
		.amdhsa_exception_fp_ieee_underflow 0
		.amdhsa_exception_fp_ieee_inexact 0
		.amdhsa_exception_int_div_zero 0
	.end_amdhsa_kernel
	.section	.text._ZN12_GLOBAL__N_141elementwise_kernel_with_index_grid_strideIlZZZN2at6native14range_cuda_outERKN3c106ScalarES6_S6_RNS1_6TensorEENKUlvE_clEvENKUlvE2_clEvEUllE_EEvT_T0_PN15function_traitsISD_E11result_typeE,"axG",@progbits,_ZN12_GLOBAL__N_141elementwise_kernel_with_index_grid_strideIlZZZN2at6native14range_cuda_outERKN3c106ScalarES6_S6_RNS1_6TensorEENKUlvE_clEvENKUlvE2_clEvEUllE_EEvT_T0_PN15function_traitsISD_E11result_typeE,comdat
.Lfunc_end53:
	.size	_ZN12_GLOBAL__N_141elementwise_kernel_with_index_grid_strideIlZZZN2at6native14range_cuda_outERKN3c106ScalarES6_S6_RNS1_6TensorEENKUlvE_clEvENKUlvE2_clEvEUllE_EEvT_T0_PN15function_traitsISD_E11result_typeE, .Lfunc_end53-_ZN12_GLOBAL__N_141elementwise_kernel_with_index_grid_strideIlZZZN2at6native14range_cuda_outERKN3c106ScalarES6_S6_RNS1_6TensorEENKUlvE_clEvENKUlvE2_clEvEUllE_EEvT_T0_PN15function_traitsISD_E11result_typeE
                                        ; -- End function
	.set _ZN12_GLOBAL__N_141elementwise_kernel_with_index_grid_strideIlZZZN2at6native14range_cuda_outERKN3c106ScalarES6_S6_RNS1_6TensorEENKUlvE_clEvENKUlvE2_clEvEUllE_EEvT_T0_PN15function_traitsISD_E11result_typeE.num_vgpr, 9
	.set _ZN12_GLOBAL__N_141elementwise_kernel_with_index_grid_strideIlZZZN2at6native14range_cuda_outERKN3c106ScalarES6_S6_RNS1_6TensorEENKUlvE_clEvENKUlvE2_clEvEUllE_EEvT_T0_PN15function_traitsISD_E11result_typeE.num_agpr, 0
	.set _ZN12_GLOBAL__N_141elementwise_kernel_with_index_grid_strideIlZZZN2at6native14range_cuda_outERKN3c106ScalarES6_S6_RNS1_6TensorEENKUlvE_clEvENKUlvE2_clEvEUllE_EEvT_T0_PN15function_traitsISD_E11result_typeE.numbered_sgpr, 16
	.set _ZN12_GLOBAL__N_141elementwise_kernel_with_index_grid_strideIlZZZN2at6native14range_cuda_outERKN3c106ScalarES6_S6_RNS1_6TensorEENKUlvE_clEvENKUlvE2_clEvEUllE_EEvT_T0_PN15function_traitsISD_E11result_typeE.num_named_barrier, 0
	.set _ZN12_GLOBAL__N_141elementwise_kernel_with_index_grid_strideIlZZZN2at6native14range_cuda_outERKN3c106ScalarES6_S6_RNS1_6TensorEENKUlvE_clEvENKUlvE2_clEvEUllE_EEvT_T0_PN15function_traitsISD_E11result_typeE.private_seg_size, 0
	.set _ZN12_GLOBAL__N_141elementwise_kernel_with_index_grid_strideIlZZZN2at6native14range_cuda_outERKN3c106ScalarES6_S6_RNS1_6TensorEENKUlvE_clEvENKUlvE2_clEvEUllE_EEvT_T0_PN15function_traitsISD_E11result_typeE.uses_vcc, 1
	.set _ZN12_GLOBAL__N_141elementwise_kernel_with_index_grid_strideIlZZZN2at6native14range_cuda_outERKN3c106ScalarES6_S6_RNS1_6TensorEENKUlvE_clEvENKUlvE2_clEvEUllE_EEvT_T0_PN15function_traitsISD_E11result_typeE.uses_flat_scratch, 0
	.set _ZN12_GLOBAL__N_141elementwise_kernel_with_index_grid_strideIlZZZN2at6native14range_cuda_outERKN3c106ScalarES6_S6_RNS1_6TensorEENKUlvE_clEvENKUlvE2_clEvEUllE_EEvT_T0_PN15function_traitsISD_E11result_typeE.has_dyn_sized_stack, 0
	.set _ZN12_GLOBAL__N_141elementwise_kernel_with_index_grid_strideIlZZZN2at6native14range_cuda_outERKN3c106ScalarES6_S6_RNS1_6TensorEENKUlvE_clEvENKUlvE2_clEvEUllE_EEvT_T0_PN15function_traitsISD_E11result_typeE.has_recursion, 0
	.set _ZN12_GLOBAL__N_141elementwise_kernel_with_index_grid_strideIlZZZN2at6native14range_cuda_outERKN3c106ScalarES6_S6_RNS1_6TensorEENKUlvE_clEvENKUlvE2_clEvEUllE_EEvT_T0_PN15function_traitsISD_E11result_typeE.has_indirect_call, 0
	.section	.AMDGPU.csdata,"",@progbits
; Kernel info:
; codeLenInByte = 244
; TotalNumSgprs: 20
; NumVgprs: 9
; ScratchSize: 0
; MemoryBound: 0
; FloatMode: 240
; IeeeMode: 1
; LDSByteSize: 0 bytes/workgroup (compile time only)
; SGPRBlocks: 2
; VGPRBlocks: 2
; NumSGPRsForWavesPerEU: 20
; NumVGPRsForWavesPerEU: 9
; Occupancy: 10
; WaveLimiterHint : 0
; COMPUTE_PGM_RSRC2:SCRATCH_EN: 0
; COMPUTE_PGM_RSRC2:USER_SGPR: 6
; COMPUTE_PGM_RSRC2:TRAP_HANDLER: 0
; COMPUTE_PGM_RSRC2:TGID_X_EN: 1
; COMPUTE_PGM_RSRC2:TGID_Y_EN: 0
; COMPUTE_PGM_RSRC2:TGID_Z_EN: 0
; COMPUTE_PGM_RSRC2:TIDIG_COMP_CNT: 0
	.section	.text._ZN12_GLOBAL__N_141elementwise_kernel_with_index_grid_strideIiZZZN2at6native14range_cuda_outERKN3c106ScalarES6_S6_RNS1_6TensorEENKUlvE_clEvENKUlvE3_clEvEUllE_EEvT_T0_PN15function_traitsISD_E11result_typeE,"axG",@progbits,_ZN12_GLOBAL__N_141elementwise_kernel_with_index_grid_strideIiZZZN2at6native14range_cuda_outERKN3c106ScalarES6_S6_RNS1_6TensorEENKUlvE_clEvENKUlvE3_clEvEUllE_EEvT_T0_PN15function_traitsISD_E11result_typeE,comdat
	.globl	_ZN12_GLOBAL__N_141elementwise_kernel_with_index_grid_strideIiZZZN2at6native14range_cuda_outERKN3c106ScalarES6_S6_RNS1_6TensorEENKUlvE_clEvENKUlvE3_clEvEUllE_EEvT_T0_PN15function_traitsISD_E11result_typeE ; -- Begin function _ZN12_GLOBAL__N_141elementwise_kernel_with_index_grid_strideIiZZZN2at6native14range_cuda_outERKN3c106ScalarES6_S6_RNS1_6TensorEENKUlvE_clEvENKUlvE3_clEvEUllE_EEvT_T0_PN15function_traitsISD_E11result_typeE
	.p2align	8
	.type	_ZN12_GLOBAL__N_141elementwise_kernel_with_index_grid_strideIiZZZN2at6native14range_cuda_outERKN3c106ScalarES6_S6_RNS1_6TensorEENKUlvE_clEvENKUlvE3_clEvEUllE_EEvT_T0_PN15function_traitsISD_E11result_typeE,@function
_ZN12_GLOBAL__N_141elementwise_kernel_with_index_grid_strideIiZZZN2at6native14range_cuda_outERKN3c106ScalarES6_S6_RNS1_6TensorEENKUlvE_clEvENKUlvE3_clEvEUllE_EEvT_T0_PN15function_traitsISD_E11result_typeE: ; @_ZN12_GLOBAL__N_141elementwise_kernel_with_index_grid_strideIiZZZN2at6native14range_cuda_outERKN3c106ScalarES6_S6_RNS1_6TensorEENKUlvE_clEvENKUlvE3_clEvEUllE_EEvT_T0_PN15function_traitsISD_E11result_typeE
; %bb.0:
	s_load_dword s2, s[4:5], 0x2c
	s_load_dword s12, s[4:5], 0x0
	s_add_u32 s0, s4, 32
	s_addc_u32 s1, s5, 0
	s_waitcnt lgkmcnt(0)
	s_and_b32 s3, s2, 0xffff
	s_mul_i32 s2, s6, s3
	v_add_u32_e32 v1, s2, v0
	v_cmp_gt_i32_e32 vcc, s12, v1
	s_and_saveexec_b64 s[8:9], vcc
	s_cbranch_execz .LBB54_8
; %bb.1:
	s_load_dword s0, s[0:1], 0x0
	s_waitcnt lgkmcnt(0)
	s_mul_i32 s2, s0, s3
	v_cvt_f32_u32_e32 v2, s2
	s_sub_i32 s1, 0, s2
	s_add_i32 s0, s6, s0
	s_mul_i32 s0, s0, s3
	v_rcp_iflag_f32_e32 v2, v2
	v_add_u32_e32 v4, s0, v0
	v_mov_b32_e32 v5, s0
	v_cmp_gt_i32_e32 vcc, s12, v4
	v_mul_f32_e32 v2, 0x4f7ffffe, v2
	v_cvt_u32_f32_e32 v2, v2
	v_max_i32_e32 v6, s12, v4
	s_load_dwordx4 s[8:11], s[4:5], 0x8
	s_load_dwordx2 s[6:7], s[4:5], 0x18
	s_mov_b64 s[4:5], -1
	v_mul_lo_u32 v3, s1, v2
	v_addc_co_u32_e64 v0, s[0:1], v0, v5, vcc
	v_sub_u32_e32 v0, v6, v0
	v_mul_hi_u32 v3, v2, v3
	v_add_u32_e32 v2, v2, v3
	v_mul_hi_u32 v2, v0, v2
	v_mul_lo_u32 v3, v2, s2
	v_add_u32_e32 v4, 1, v2
	v_sub_u32_e32 v0, v0, v3
	v_cmp_le_u32_e64 s[0:1], s2, v0
	v_subrev_u32_e32 v3, s2, v0
	v_cndmask_b32_e64 v2, v2, v4, s[0:1]
	v_cndmask_b32_e64 v0, v0, v3, s[0:1]
	v_add_u32_e32 v3, 1, v2
	v_cmp_le_u32_e64 s[0:1], s2, v0
	v_cndmask_b32_e64 v0, v2, v3, s[0:1]
	v_addc_co_u32_e32 v0, vcc, 1, v0, vcc
	v_cmp_lt_u32_e32 vcc, 1, v0
	s_and_saveexec_b64 s[0:1], vcc
	s_cbranch_execz .LBB54_5
; %bb.2:
	v_add_u32_e32 v2, s2, v1
	v_and_b32_e32 v4, -2, v0
	s_lshl_b32 s16, s2, 1
	v_mov_b32_e32 v3, v2
	s_waitcnt lgkmcnt(0)
	s_mov_b32 s3, s10
	s_mov_b32 s13, s10
	;; [unrolled: 1-line block ×5, first 2 shown]
	s_mov_b64 s[4:5], 0
	v_mov_b32_e32 v5, s7
	v_mov_b32_e32 v6, v4
	;; [unrolled: 1-line block ×3, first 2 shown]
.LBB54_3:                               ; =>This Inner Loop Header: Depth=1
	v_ashrrev_i32_e32 v10, 31, v2
	v_mov_b32_e32 v9, v2
	v_mul_lo_u32 v11, s3, v2
	v_add_u32_e32 v6, -2, v6
	v_lshlrev_b64 v[9:10], 1, v[9:10]
	v_ashrrev_i32_e32 v8, 31, v3
	v_mov_b32_e32 v7, v3
	v_mul_lo_u32 v12, s13, v3
	v_cmp_eq_u32_e32 vcc, 0, v6
	v_lshlrev_b64 v[7:8], 1, v[7:8]
	s_or_b64 s[4:5], vcc, s[4:5]
	v_add_co_u32_e32 v9, vcc, s6, v9
	v_addc_co_u32_e32 v10, vcc, v5, v10, vcc
	v_add_u32_e32 v3, s17, v3
	v_add_u32_e32 v2, s16, v2
	v_add_co_u32_e32 v7, vcc, s6, v7
	v_add_u32_e32 v11, s14, v11
	v_addc_co_u32_e32 v8, vcc, v5, v8, vcc
	v_add_u32_e32 v12, s15, v12
	global_store_short v[9:10], v11, off
	global_store_short v[7:8], v12, off
	s_andn2_b64 exec, exec, s[4:5]
	s_cbranch_execnz .LBB54_3
; %bb.4:
	s_or_b64 exec, exec, s[4:5]
	v_mad_u64_u32 v[1:2], s[4:5], v4, s2, v[1:2]
	v_cmp_ne_u32_e32 vcc, v0, v4
	s_orn2_b64 s[4:5], vcc, exec
.LBB54_5:
	s_or_b64 exec, exec, s[0:1]
	s_and_b64 exec, exec, s[4:5]
	s_cbranch_execz .LBB54_8
; %bb.6:
	s_waitcnt lgkmcnt(0)
	v_mov_b32_e32 v3, s8
	v_ashrrev_i32_e32 v2, 31, v1
	v_mov_b32_e32 v4, s9
	v_lshlrev_b64 v[5:6], 1, v[1:2]
	v_mad_u64_u32 v[3:4], s[0:1], s10, v1, v[3:4]
	v_mul_lo_u32 v7, s11, v1
	v_mul_lo_u32 v2, s10, v2
	s_ashr_i32 s3, s2, 31
	s_mul_hi_u32 s0, s10, s2
	s_mul_i32 s1, s10, s3
	s_add_i32 s0, s0, s1
	s_mul_i32 s1, s11, s2
	v_mov_b32_e32 v0, s7
	v_add_co_u32_e32 v5, vcc, s6, v5
	s_lshl_b64 s[4:5], s[2:3], 1
	s_add_i32 s0, s0, s1
	v_addc_co_u32_e32 v6, vcc, v0, v6, vcc
	v_add3_u32 v4, v7, v4, v2
	s_mul_i32 s3, s10, s2
	s_mov_b64 s[6:7], 0
	v_mov_b32_e32 v0, s5
	v_mov_b32_e32 v2, s0
.LBB54_7:                               ; =>This Inner Loop Header: Depth=1
	global_store_short v[5:6], v3, off
	v_add_co_u32_e32 v5, vcc, s4, v5
	v_add_u32_e32 v1, s2, v1
	v_addc_co_u32_e32 v6, vcc, v6, v0, vcc
	v_add_co_u32_e32 v3, vcc, s3, v3
	v_cmp_le_i32_e64 s[0:1], s12, v1
	s_or_b64 s[6:7], s[0:1], s[6:7]
	v_addc_co_u32_e32 v4, vcc, v4, v2, vcc
	s_andn2_b64 exec, exec, s[6:7]
	s_cbranch_execnz .LBB54_7
.LBB54_8:
	s_endpgm
	.section	.rodata,"a",@progbits
	.p2align	6, 0x0
	.amdhsa_kernel _ZN12_GLOBAL__N_141elementwise_kernel_with_index_grid_strideIiZZZN2at6native14range_cuda_outERKN3c106ScalarES6_S6_RNS1_6TensorEENKUlvE_clEvENKUlvE3_clEvEUllE_EEvT_T0_PN15function_traitsISD_E11result_typeE
		.amdhsa_group_segment_fixed_size 0
		.amdhsa_private_segment_fixed_size 0
		.amdhsa_kernarg_size 288
		.amdhsa_user_sgpr_count 6
		.amdhsa_user_sgpr_private_segment_buffer 1
		.amdhsa_user_sgpr_dispatch_ptr 0
		.amdhsa_user_sgpr_queue_ptr 0
		.amdhsa_user_sgpr_kernarg_segment_ptr 1
		.amdhsa_user_sgpr_dispatch_id 0
		.amdhsa_user_sgpr_flat_scratch_init 0
		.amdhsa_user_sgpr_private_segment_size 0
		.amdhsa_uses_dynamic_stack 0
		.amdhsa_system_sgpr_private_segment_wavefront_offset 0
		.amdhsa_system_sgpr_workgroup_id_x 1
		.amdhsa_system_sgpr_workgroup_id_y 0
		.amdhsa_system_sgpr_workgroup_id_z 0
		.amdhsa_system_sgpr_workgroup_info 0
		.amdhsa_system_vgpr_workitem_id 0
		.amdhsa_next_free_vgpr 13
		.amdhsa_next_free_sgpr 18
		.amdhsa_reserve_vcc 1
		.amdhsa_reserve_flat_scratch 0
		.amdhsa_float_round_mode_32 0
		.amdhsa_float_round_mode_16_64 0
		.amdhsa_float_denorm_mode_32 3
		.amdhsa_float_denorm_mode_16_64 3
		.amdhsa_dx10_clamp 1
		.amdhsa_ieee_mode 1
		.amdhsa_fp16_overflow 0
		.amdhsa_exception_fp_ieee_invalid_op 0
		.amdhsa_exception_fp_denorm_src 0
		.amdhsa_exception_fp_ieee_div_zero 0
		.amdhsa_exception_fp_ieee_overflow 0
		.amdhsa_exception_fp_ieee_underflow 0
		.amdhsa_exception_fp_ieee_inexact 0
		.amdhsa_exception_int_div_zero 0
	.end_amdhsa_kernel
	.section	.text._ZN12_GLOBAL__N_141elementwise_kernel_with_index_grid_strideIiZZZN2at6native14range_cuda_outERKN3c106ScalarES6_S6_RNS1_6TensorEENKUlvE_clEvENKUlvE3_clEvEUllE_EEvT_T0_PN15function_traitsISD_E11result_typeE,"axG",@progbits,_ZN12_GLOBAL__N_141elementwise_kernel_with_index_grid_strideIiZZZN2at6native14range_cuda_outERKN3c106ScalarES6_S6_RNS1_6TensorEENKUlvE_clEvENKUlvE3_clEvEUllE_EEvT_T0_PN15function_traitsISD_E11result_typeE,comdat
.Lfunc_end54:
	.size	_ZN12_GLOBAL__N_141elementwise_kernel_with_index_grid_strideIiZZZN2at6native14range_cuda_outERKN3c106ScalarES6_S6_RNS1_6TensorEENKUlvE_clEvENKUlvE3_clEvEUllE_EEvT_T0_PN15function_traitsISD_E11result_typeE, .Lfunc_end54-_ZN12_GLOBAL__N_141elementwise_kernel_with_index_grid_strideIiZZZN2at6native14range_cuda_outERKN3c106ScalarES6_S6_RNS1_6TensorEENKUlvE_clEvENKUlvE3_clEvEUllE_EEvT_T0_PN15function_traitsISD_E11result_typeE
                                        ; -- End function
	.set _ZN12_GLOBAL__N_141elementwise_kernel_with_index_grid_strideIiZZZN2at6native14range_cuda_outERKN3c106ScalarES6_S6_RNS1_6TensorEENKUlvE_clEvENKUlvE3_clEvEUllE_EEvT_T0_PN15function_traitsISD_E11result_typeE.num_vgpr, 13
	.set _ZN12_GLOBAL__N_141elementwise_kernel_with_index_grid_strideIiZZZN2at6native14range_cuda_outERKN3c106ScalarES6_S6_RNS1_6TensorEENKUlvE_clEvENKUlvE3_clEvEUllE_EEvT_T0_PN15function_traitsISD_E11result_typeE.num_agpr, 0
	.set _ZN12_GLOBAL__N_141elementwise_kernel_with_index_grid_strideIiZZZN2at6native14range_cuda_outERKN3c106ScalarES6_S6_RNS1_6TensorEENKUlvE_clEvENKUlvE3_clEvEUllE_EEvT_T0_PN15function_traitsISD_E11result_typeE.numbered_sgpr, 18
	.set _ZN12_GLOBAL__N_141elementwise_kernel_with_index_grid_strideIiZZZN2at6native14range_cuda_outERKN3c106ScalarES6_S6_RNS1_6TensorEENKUlvE_clEvENKUlvE3_clEvEUllE_EEvT_T0_PN15function_traitsISD_E11result_typeE.num_named_barrier, 0
	.set _ZN12_GLOBAL__N_141elementwise_kernel_with_index_grid_strideIiZZZN2at6native14range_cuda_outERKN3c106ScalarES6_S6_RNS1_6TensorEENKUlvE_clEvENKUlvE3_clEvEUllE_EEvT_T0_PN15function_traitsISD_E11result_typeE.private_seg_size, 0
	.set _ZN12_GLOBAL__N_141elementwise_kernel_with_index_grid_strideIiZZZN2at6native14range_cuda_outERKN3c106ScalarES6_S6_RNS1_6TensorEENKUlvE_clEvENKUlvE3_clEvEUllE_EEvT_T0_PN15function_traitsISD_E11result_typeE.uses_vcc, 1
	.set _ZN12_GLOBAL__N_141elementwise_kernel_with_index_grid_strideIiZZZN2at6native14range_cuda_outERKN3c106ScalarES6_S6_RNS1_6TensorEENKUlvE_clEvENKUlvE3_clEvEUllE_EEvT_T0_PN15function_traitsISD_E11result_typeE.uses_flat_scratch, 0
	.set _ZN12_GLOBAL__N_141elementwise_kernel_with_index_grid_strideIiZZZN2at6native14range_cuda_outERKN3c106ScalarES6_S6_RNS1_6TensorEENKUlvE_clEvENKUlvE3_clEvEUllE_EEvT_T0_PN15function_traitsISD_E11result_typeE.has_dyn_sized_stack, 0
	.set _ZN12_GLOBAL__N_141elementwise_kernel_with_index_grid_strideIiZZZN2at6native14range_cuda_outERKN3c106ScalarES6_S6_RNS1_6TensorEENKUlvE_clEvENKUlvE3_clEvEUllE_EEvT_T0_PN15function_traitsISD_E11result_typeE.has_recursion, 0
	.set _ZN12_GLOBAL__N_141elementwise_kernel_with_index_grid_strideIiZZZN2at6native14range_cuda_outERKN3c106ScalarES6_S6_RNS1_6TensorEENKUlvE_clEvENKUlvE3_clEvEUllE_EEvT_T0_PN15function_traitsISD_E11result_typeE.has_indirect_call, 0
	.section	.AMDGPU.csdata,"",@progbits
; Kernel info:
; codeLenInByte = 628
; TotalNumSgprs: 22
; NumVgprs: 13
; ScratchSize: 0
; MemoryBound: 0
; FloatMode: 240
; IeeeMode: 1
; LDSByteSize: 0 bytes/workgroup (compile time only)
; SGPRBlocks: 2
; VGPRBlocks: 3
; NumSGPRsForWavesPerEU: 22
; NumVGPRsForWavesPerEU: 13
; Occupancy: 10
; WaveLimiterHint : 0
; COMPUTE_PGM_RSRC2:SCRATCH_EN: 0
; COMPUTE_PGM_RSRC2:USER_SGPR: 6
; COMPUTE_PGM_RSRC2:TRAP_HANDLER: 0
; COMPUTE_PGM_RSRC2:TGID_X_EN: 1
; COMPUTE_PGM_RSRC2:TGID_Y_EN: 0
; COMPUTE_PGM_RSRC2:TGID_Z_EN: 0
; COMPUTE_PGM_RSRC2:TIDIG_COMP_CNT: 0
	.section	.text._ZN12_GLOBAL__N_141elementwise_kernel_with_index_grid_strideIlZZZN2at6native14range_cuda_outERKN3c106ScalarES6_S6_RNS1_6TensorEENKUlvE_clEvENKUlvE3_clEvEUllE_EEvT_T0_PN15function_traitsISD_E11result_typeE,"axG",@progbits,_ZN12_GLOBAL__N_141elementwise_kernel_with_index_grid_strideIlZZZN2at6native14range_cuda_outERKN3c106ScalarES6_S6_RNS1_6TensorEENKUlvE_clEvENKUlvE3_clEvEUllE_EEvT_T0_PN15function_traitsISD_E11result_typeE,comdat
	.globl	_ZN12_GLOBAL__N_141elementwise_kernel_with_index_grid_strideIlZZZN2at6native14range_cuda_outERKN3c106ScalarES6_S6_RNS1_6TensorEENKUlvE_clEvENKUlvE3_clEvEUllE_EEvT_T0_PN15function_traitsISD_E11result_typeE ; -- Begin function _ZN12_GLOBAL__N_141elementwise_kernel_with_index_grid_strideIlZZZN2at6native14range_cuda_outERKN3c106ScalarES6_S6_RNS1_6TensorEENKUlvE_clEvENKUlvE3_clEvEUllE_EEvT_T0_PN15function_traitsISD_E11result_typeE
	.p2align	8
	.type	_ZN12_GLOBAL__N_141elementwise_kernel_with_index_grid_strideIlZZZN2at6native14range_cuda_outERKN3c106ScalarES6_S6_RNS1_6TensorEENKUlvE_clEvENKUlvE3_clEvEUllE_EEvT_T0_PN15function_traitsISD_E11result_typeE,@function
_ZN12_GLOBAL__N_141elementwise_kernel_with_index_grid_strideIlZZZN2at6native14range_cuda_outERKN3c106ScalarES6_S6_RNS1_6TensorEENKUlvE_clEvENKUlvE3_clEvEUllE_EEvT_T0_PN15function_traitsISD_E11result_typeE: ; @_ZN12_GLOBAL__N_141elementwise_kernel_with_index_grid_strideIlZZZN2at6native14range_cuda_outERKN3c106ScalarES6_S6_RNS1_6TensorEENKUlvE_clEvENKUlvE3_clEvEUllE_EEvT_T0_PN15function_traitsISD_E11result_typeE
; %bb.0:
	s_load_dword s2, s[4:5], 0x2c
	s_load_dwordx8 s[8:15], s[4:5], 0x0
	s_add_u32 s0, s4, 32
	s_addc_u32 s1, s5, 0
	v_mov_b32_e32 v1, 0
	s_waitcnt lgkmcnt(0)
	s_and_b32 s18, s2, 0xffff
	v_mov_b32_e32 v2, s6
	v_mad_u64_u32 v[2:3], s[2:3], s18, v2, v[0:1]
	v_cmp_gt_i64_e32 vcc, s[8:9], v[2:3]
	s_and_saveexec_b64 s[2:3], vcc
	s_cbranch_execz .LBB55_14
; %bb.1:
	s_load_dword s19, s[0:1], 0x0
	v_mov_b32_e32 v4, s18
	v_mov_b32_e32 v7, s9
	v_mov_b32_e32 v8, s8
	s_waitcnt lgkmcnt(0)
	s_add_u32 s0, s6, s19
	v_mad_u64_u32 v[5:6], s[0:1], s0, v4, v[0:1]
	s_addc_u32 s0, 0, 0
	s_mul_i32 s0, s0, s18
	v_add_u32_e32 v6, s0, v6
	v_cmp_gt_i64_e32 vcc, s[8:9], v[5:6]
	s_mul_hi_u32 s3, s18, s19
	v_cndmask_b32_e64 v4, 0, 1, vcc
	v_cndmask_b32_e32 v0, v6, v7, vcc
	v_cndmask_b32_e32 v7, v5, v8, vcc
	v_add_co_u32_e32 v5, vcc, v5, v4
	v_addc_co_u32_e32 v6, vcc, 0, v6, vcc
	v_sub_co_u32_e32 v5, vcc, v7, v5
	v_subb_co_u32_e32 v6, vcc, v0, v6, vcc
	v_or_b32_e32 v8, s3, v6
	v_mov_b32_e32 v7, v1
	v_cmp_ne_u64_e32 vcc, 0, v[7:8]
	s_mul_i32 s2, s18, s19
                                        ; implicit-def: $vgpr0_vgpr1
	s_and_saveexec_b64 s[0:1], vcc
	s_xor_b64 s[4:5], exec, s[0:1]
	s_cbranch_execz .LBB55_3
; %bb.2:
	v_cvt_f32_u32_e32 v0, s2
	v_cvt_f32_u32_e32 v1, s3
	s_sub_u32 s6, 0, s2
	s_subb_u32 s7, 0, s3
	v_madmk_f32 v0, v1, 0x4f800000, v0
	v_rcp_f32_e32 v0, v0
	v_mul_f32_e32 v0, 0x5f7ffffc, v0
	v_mul_f32_e32 v1, 0x2f800000, v0
	v_trunc_f32_e32 v1, v1
	v_madmk_f32 v0, v1, 0xcf800000, v0
	v_cvt_u32_f32_e32 v1, v1
	v_cvt_u32_f32_e32 v0, v0
	v_readfirstlane_b32 s16, v1
	v_readfirstlane_b32 s0, v0
	s_mul_i32 s1, s6, s16
	s_mul_hi_u32 s20, s6, s0
	s_mul_i32 s17, s7, s0
	s_add_i32 s1, s20, s1
	s_mul_i32 s21, s6, s0
	s_add_i32 s1, s1, s17
	s_mul_i32 s20, s0, s1
	s_mul_hi_u32 s22, s0, s21
	s_mul_hi_u32 s17, s0, s1
	s_add_u32 s20, s22, s20
	s_addc_u32 s17, 0, s17
	s_mul_hi_u32 s23, s16, s21
	s_mul_i32 s21, s16, s21
	s_add_u32 s20, s20, s21
	s_mul_hi_u32 s22, s16, s1
	s_addc_u32 s17, s17, s23
	s_addc_u32 s20, s22, 0
	s_mul_i32 s1, s16, s1
	s_add_u32 s1, s17, s1
	s_addc_u32 s17, 0, s20
	s_add_u32 s20, s0, s1
	s_cselect_b64 s[0:1], -1, 0
	s_cmp_lg_u64 s[0:1], 0
	s_addc_u32 s16, s16, s17
	s_mul_i32 s0, s6, s16
	s_mul_hi_u32 s1, s6, s20
	s_add_i32 s0, s1, s0
	s_mul_i32 s7, s7, s20
	s_add_i32 s0, s0, s7
	s_mul_i32 s6, s6, s20
	s_mul_hi_u32 s7, s16, s6
	s_mul_i32 s17, s16, s6
	s_mul_i32 s22, s20, s0
	s_mul_hi_u32 s6, s20, s6
	s_mul_hi_u32 s21, s20, s0
	s_add_u32 s6, s6, s22
	s_addc_u32 s21, 0, s21
	s_add_u32 s6, s6, s17
	s_mul_hi_u32 s1, s16, s0
	s_addc_u32 s6, s21, s7
	s_addc_u32 s1, s1, 0
	s_mul_i32 s0, s16, s0
	s_add_u32 s0, s6, s0
	s_addc_u32 s6, 0, s1
	s_add_u32 s7, s20, s0
	s_cselect_b64 s[0:1], -1, 0
	s_cmp_lg_u64 s[0:1], 0
	s_addc_u32 s6, s16, s6
	v_mad_u64_u32 v[0:1], s[0:1], v5, s6, 0
	v_mul_hi_u32 v7, v5, s7
	v_add_co_u32_e32 v9, vcc, v7, v0
	v_addc_co_u32_e32 v10, vcc, 0, v1, vcc
	v_mad_u64_u32 v[0:1], s[0:1], v6, s7, 0
	v_mad_u64_u32 v[7:8], s[0:1], v6, s6, 0
	v_add_co_u32_e32 v0, vcc, v9, v0
	v_addc_co_u32_e32 v0, vcc, v10, v1, vcc
	v_addc_co_u32_e32 v1, vcc, 0, v8, vcc
	v_add_co_u32_e32 v7, vcc, v0, v7
	v_addc_co_u32_e32 v8, vcc, 0, v1, vcc
	v_mul_lo_u32 v9, s3, v7
	v_mul_lo_u32 v10, s2, v8
	v_mad_u64_u32 v[0:1], s[0:1], s2, v7, 0
	v_add3_u32 v1, v1, v10, v9
	v_sub_u32_e32 v9, v6, v1
	v_mov_b32_e32 v10, s3
	v_sub_co_u32_e32 v0, vcc, v5, v0
	v_subb_co_u32_e64 v5, s[0:1], v9, v10, vcc
	v_subrev_co_u32_e64 v9, s[0:1], s2, v0
	v_subbrev_co_u32_e64 v5, s[0:1], 0, v5, s[0:1]
	v_cmp_le_u32_e64 s[0:1], s3, v5
	v_cndmask_b32_e64 v10, 0, -1, s[0:1]
	v_cmp_le_u32_e64 s[0:1], s2, v9
	v_cndmask_b32_e64 v9, 0, -1, s[0:1]
	v_cmp_eq_u32_e64 s[0:1], s3, v5
	v_cndmask_b32_e64 v5, v10, v9, s[0:1]
	v_add_co_u32_e64 v9, s[0:1], 2, v7
	v_subb_co_u32_e32 v1, vcc, v6, v1, vcc
	v_addc_co_u32_e64 v10, s[0:1], 0, v8, s[0:1]
	v_cmp_le_u32_e32 vcc, s3, v1
	v_add_co_u32_e64 v11, s[0:1], 1, v7
	v_cndmask_b32_e64 v6, 0, -1, vcc
	v_cmp_le_u32_e32 vcc, s2, v0
	v_addc_co_u32_e64 v12, s[0:1], 0, v8, s[0:1]
	v_cndmask_b32_e64 v0, 0, -1, vcc
	v_cmp_eq_u32_e32 vcc, s3, v1
	v_cmp_ne_u32_e64 s[0:1], 0, v5
	v_cndmask_b32_e32 v0, v6, v0, vcc
	v_cndmask_b32_e64 v5, v12, v10, s[0:1]
	v_cmp_ne_u32_e32 vcc, 0, v0
	v_cndmask_b32_e64 v0, v11, v9, s[0:1]
	v_cndmask_b32_e32 v1, v8, v5, vcc
	v_cndmask_b32_e32 v0, v7, v0, vcc
                                        ; implicit-def: $vgpr5
.LBB55_3:
	s_andn2_saveexec_b64 s[0:1], s[4:5]
	s_cbranch_execz .LBB55_5
; %bb.4:
	v_cvt_f32_u32_e32 v0, s2
	s_sub_i32 s4, 0, s2
	v_rcp_iflag_f32_e32 v0, v0
	v_mul_f32_e32 v0, 0x4f7ffffe, v0
	v_cvt_u32_f32_e32 v0, v0
	v_mul_lo_u32 v1, s4, v0
	v_mul_hi_u32 v1, v0, v1
	v_add_u32_e32 v0, v0, v1
	v_mul_hi_u32 v0, v5, v0
	v_mul_lo_u32 v1, v0, s2
	v_add_u32_e32 v6, 1, v0
	v_sub_u32_e32 v1, v5, v1
	v_subrev_u32_e32 v5, s2, v1
	v_cmp_le_u32_e32 vcc, s2, v1
	v_cndmask_b32_e32 v1, v1, v5, vcc
	v_cndmask_b32_e32 v0, v0, v6, vcc
	v_add_u32_e32 v5, 1, v0
	v_cmp_le_u32_e32 vcc, s2, v1
	v_cndmask_b32_e32 v0, v0, v5, vcc
	v_mov_b32_e32 v1, 0
.LBB55_5:
	s_or_b64 exec, exec, s[0:1]
	v_add_co_u32_e32 v0, vcc, v0, v4
	v_addc_co_u32_e32 v1, vcc, 0, v1, vcc
	v_add_co_u32_e32 v0, vcc, 1, v0
	v_addc_co_u32_e32 v1, vcc, 0, v1, vcc
	v_cmp_lt_u64_e32 vcc, 1, v[0:1]
	s_mov_b64 s[4:5], 0
                                        ; implicit-def: $vgpr4_vgpr5
	s_and_saveexec_b64 s[0:1], vcc
	s_xor_b64 s[0:1], exec, s[0:1]
	s_cbranch_execnz .LBB55_8
; %bb.6:
	s_andn2_saveexec_b64 s[0:1], s[0:1]
	s_cbranch_execnz .LBB55_11
.LBB55_7:
	s_or_b64 exec, exec, s[0:1]
	s_and_b64 exec, exec, s[4:5]
	s_cbranch_execnz .LBB55_12
	s_branch .LBB55_14
.LBB55_8:
	v_mov_b32_e32 v5, s3
	v_add_co_u32_e32 v4, vcc, s2, v2
	v_lshlrev_b64 v[6:7], 1, v[2:3]
	v_addc_co_u32_e32 v5, vcc, v3, v5, vcc
	v_mov_b32_e32 v9, v1
	v_mov_b32_e32 v11, s15
	v_add_co_u32_e32 v10, vcc, s14, v6
	v_and_b32_e32 v8, -2, v0
	s_lshl_b64 s[4:5], s[2:3], 1
	v_addc_co_u32_e32 v11, vcc, v11, v7, vcc
	s_lshl_b64 s[16:17], s[2:3], 2
	v_mov_b32_e32 v13, v9
	v_mov_b32_e32 v7, v5
	s_mov_b32 s20, s12
	s_mov_b32 s21, s12
	;; [unrolled: 1-line block ×5, first 2 shown]
	s_mov_b64 s[6:7], 0
	v_mov_b32_e32 v14, s5
	v_mov_b32_e32 v15, s5
	;; [unrolled: 1-line block ×8, first 2 shown]
.LBB55_9:                               ; =>This Inner Loop Header: Depth=1
	v_add_co_u32_e32 v18, vcc, s4, v10
	v_addc_co_u32_e32 v19, vcc, v11, v14, vcc
	v_mul_lo_u32 v21, v6, s21
	v_add_co_u32_e32 v6, vcc, s24, v6
	v_addc_co_u32_e32 v7, vcc, v7, v15, vcc
	v_mul_lo_u32 v20, v4, s20
	v_add_co_u32_e32 v4, vcc, s4, v4
	v_addc_co_u32_e32 v5, vcc, v5, v16, vcc
	v_add_co_u32_e32 v12, vcc, -2, v12
	v_addc_co_u32_e32 v13, vcc, -1, v13, vcc
	v_cmp_eq_u64_e32 vcc, 0, v[12:13]
	v_add_u32_e32 v20, s22, v20
	s_or_b64 s[6:7], vcc, s[6:7]
	v_add_u32_e32 v21, s23, v21
	global_store_short v[10:11], v20, off
	global_store_short v[18:19], v21, off
	v_add_co_u32_e32 v10, vcc, s16, v10
	v_addc_co_u32_e32 v11, vcc, v11, v17, vcc
	s_andn2_b64 exec, exec, s[6:7]
	s_cbranch_execnz .LBB55_9
; %bb.10:
	s_or_b64 exec, exec, s[6:7]
	v_mad_u64_u32 v[2:3], s[6:7], v8, s2, v[2:3]
	v_mul_lo_u32 v4, v8, s3
	v_mul_lo_u32 v5, v9, s2
	v_cmp_ne_u64_e32 vcc, v[0:1], v[8:9]
	v_add3_u32 v3, v5, v3, v4
	v_mov_b32_e32 v4, s4
	v_mov_b32_e32 v5, s5
	s_and_b64 s[4:5], vcc, exec
	s_andn2_saveexec_b64 s[0:1], s[0:1]
	s_cbranch_execz .LBB55_7
.LBB55_11:
	s_lshl_b64 s[6:7], s[2:3], 1
	v_mov_b32_e32 v4, s6
	v_mov_b32_e32 v5, s7
	s_or_b64 s[4:5], s[4:5], exec
	s_or_b64 exec, exec, s[0:1]
	s_and_b64 exec, exec, s[4:5]
	s_cbranch_execz .LBB55_14
.LBB55_12:
	v_mov_b32_e32 v0, s10
	v_mov_b32_e32 v1, s11
	v_mul_lo_u32 v6, v2, s13
	v_mul_lo_u32 v7, v3, s12
	v_mad_u64_u32 v[0:1], s[0:1], v2, s12, v[0:1]
	s_mul_i32 s0, s13, s18
	s_mul_hi_u32 s1, s12, s18
	v_add3_u32 v1, v7, v1, v6
	s_add_i32 s0, s1, s0
	s_mul_i32 s1, s12, s18
	v_lshlrev_b64 v[6:7], 1, v[2:3]
	s_mul_i32 s0, s0, s19
	s_mul_hi_u32 s4, s1, s19
	s_add_i32 s0, s4, s0
	v_mov_b32_e32 v8, s15
	v_add_co_u32_e32 v6, vcc, s14, v6
	s_mul_i32 s6, s1, s19
	v_addc_co_u32_e32 v7, vcc, v8, v7, vcc
	s_mov_b64 s[4:5], 0
	v_mov_b32_e32 v8, s3
	v_mov_b32_e32 v9, s0
.LBB55_13:                              ; =>This Inner Loop Header: Depth=1
	v_add_co_u32_e32 v2, vcc, s2, v2
	v_addc_co_u32_e32 v3, vcc, v3, v8, vcc
	global_store_short v[6:7], v0, off
	v_add_co_u32_e32 v0, vcc, s6, v0
	v_addc_co_u32_e32 v1, vcc, v1, v9, vcc
	v_cmp_le_i64_e64 s[0:1], s[8:9], v[2:3]
	v_add_co_u32_e32 v6, vcc, v6, v4
	s_or_b64 s[4:5], s[0:1], s[4:5]
	v_addc_co_u32_e32 v7, vcc, v7, v5, vcc
	s_andn2_b64 exec, exec, s[4:5]
	s_cbranch_execnz .LBB55_13
.LBB55_14:
	s_endpgm
	.section	.rodata,"a",@progbits
	.p2align	6, 0x0
	.amdhsa_kernel _ZN12_GLOBAL__N_141elementwise_kernel_with_index_grid_strideIlZZZN2at6native14range_cuda_outERKN3c106ScalarES6_S6_RNS1_6TensorEENKUlvE_clEvENKUlvE3_clEvEUllE_EEvT_T0_PN15function_traitsISD_E11result_typeE
		.amdhsa_group_segment_fixed_size 0
		.amdhsa_private_segment_fixed_size 0
		.amdhsa_kernarg_size 288
		.amdhsa_user_sgpr_count 6
		.amdhsa_user_sgpr_private_segment_buffer 1
		.amdhsa_user_sgpr_dispatch_ptr 0
		.amdhsa_user_sgpr_queue_ptr 0
		.amdhsa_user_sgpr_kernarg_segment_ptr 1
		.amdhsa_user_sgpr_dispatch_id 0
		.amdhsa_user_sgpr_flat_scratch_init 0
		.amdhsa_user_sgpr_private_segment_size 0
		.amdhsa_uses_dynamic_stack 0
		.amdhsa_system_sgpr_private_segment_wavefront_offset 0
		.amdhsa_system_sgpr_workgroup_id_x 1
		.amdhsa_system_sgpr_workgroup_id_y 0
		.amdhsa_system_sgpr_workgroup_id_z 0
		.amdhsa_system_sgpr_workgroup_info 0
		.amdhsa_system_vgpr_workitem_id 0
		.amdhsa_next_free_vgpr 22
		.amdhsa_next_free_sgpr 25
		.amdhsa_reserve_vcc 1
		.amdhsa_reserve_flat_scratch 0
		.amdhsa_float_round_mode_32 0
		.amdhsa_float_round_mode_16_64 0
		.amdhsa_float_denorm_mode_32 3
		.amdhsa_float_denorm_mode_16_64 3
		.amdhsa_dx10_clamp 1
		.amdhsa_ieee_mode 1
		.amdhsa_fp16_overflow 0
		.amdhsa_exception_fp_ieee_invalid_op 0
		.amdhsa_exception_fp_denorm_src 0
		.amdhsa_exception_fp_ieee_div_zero 0
		.amdhsa_exception_fp_ieee_overflow 0
		.amdhsa_exception_fp_ieee_underflow 0
		.amdhsa_exception_fp_ieee_inexact 0
		.amdhsa_exception_int_div_zero 0
	.end_amdhsa_kernel
	.section	.text._ZN12_GLOBAL__N_141elementwise_kernel_with_index_grid_strideIlZZZN2at6native14range_cuda_outERKN3c106ScalarES6_S6_RNS1_6TensorEENKUlvE_clEvENKUlvE3_clEvEUllE_EEvT_T0_PN15function_traitsISD_E11result_typeE,"axG",@progbits,_ZN12_GLOBAL__N_141elementwise_kernel_with_index_grid_strideIlZZZN2at6native14range_cuda_outERKN3c106ScalarES6_S6_RNS1_6TensorEENKUlvE_clEvENKUlvE3_clEvEUllE_EEvT_T0_PN15function_traitsISD_E11result_typeE,comdat
.Lfunc_end55:
	.size	_ZN12_GLOBAL__N_141elementwise_kernel_with_index_grid_strideIlZZZN2at6native14range_cuda_outERKN3c106ScalarES6_S6_RNS1_6TensorEENKUlvE_clEvENKUlvE3_clEvEUllE_EEvT_T0_PN15function_traitsISD_E11result_typeE, .Lfunc_end55-_ZN12_GLOBAL__N_141elementwise_kernel_with_index_grid_strideIlZZZN2at6native14range_cuda_outERKN3c106ScalarES6_S6_RNS1_6TensorEENKUlvE_clEvENKUlvE3_clEvEUllE_EEvT_T0_PN15function_traitsISD_E11result_typeE
                                        ; -- End function
	.set _ZN12_GLOBAL__N_141elementwise_kernel_with_index_grid_strideIlZZZN2at6native14range_cuda_outERKN3c106ScalarES6_S6_RNS1_6TensorEENKUlvE_clEvENKUlvE3_clEvEUllE_EEvT_T0_PN15function_traitsISD_E11result_typeE.num_vgpr, 22
	.set _ZN12_GLOBAL__N_141elementwise_kernel_with_index_grid_strideIlZZZN2at6native14range_cuda_outERKN3c106ScalarES6_S6_RNS1_6TensorEENKUlvE_clEvENKUlvE3_clEvEUllE_EEvT_T0_PN15function_traitsISD_E11result_typeE.num_agpr, 0
	.set _ZN12_GLOBAL__N_141elementwise_kernel_with_index_grid_strideIlZZZN2at6native14range_cuda_outERKN3c106ScalarES6_S6_RNS1_6TensorEENKUlvE_clEvENKUlvE3_clEvEUllE_EEvT_T0_PN15function_traitsISD_E11result_typeE.numbered_sgpr, 25
	.set _ZN12_GLOBAL__N_141elementwise_kernel_with_index_grid_strideIlZZZN2at6native14range_cuda_outERKN3c106ScalarES6_S6_RNS1_6TensorEENKUlvE_clEvENKUlvE3_clEvEUllE_EEvT_T0_PN15function_traitsISD_E11result_typeE.num_named_barrier, 0
	.set _ZN12_GLOBAL__N_141elementwise_kernel_with_index_grid_strideIlZZZN2at6native14range_cuda_outERKN3c106ScalarES6_S6_RNS1_6TensorEENKUlvE_clEvENKUlvE3_clEvEUllE_EEvT_T0_PN15function_traitsISD_E11result_typeE.private_seg_size, 0
	.set _ZN12_GLOBAL__N_141elementwise_kernel_with_index_grid_strideIlZZZN2at6native14range_cuda_outERKN3c106ScalarES6_S6_RNS1_6TensorEENKUlvE_clEvENKUlvE3_clEvEUllE_EEvT_T0_PN15function_traitsISD_E11result_typeE.uses_vcc, 1
	.set _ZN12_GLOBAL__N_141elementwise_kernel_with_index_grid_strideIlZZZN2at6native14range_cuda_outERKN3c106ScalarES6_S6_RNS1_6TensorEENKUlvE_clEvENKUlvE3_clEvEUllE_EEvT_T0_PN15function_traitsISD_E11result_typeE.uses_flat_scratch, 0
	.set _ZN12_GLOBAL__N_141elementwise_kernel_with_index_grid_strideIlZZZN2at6native14range_cuda_outERKN3c106ScalarES6_S6_RNS1_6TensorEENKUlvE_clEvENKUlvE3_clEvEUllE_EEvT_T0_PN15function_traitsISD_E11result_typeE.has_dyn_sized_stack, 0
	.set _ZN12_GLOBAL__N_141elementwise_kernel_with_index_grid_strideIlZZZN2at6native14range_cuda_outERKN3c106ScalarES6_S6_RNS1_6TensorEENKUlvE_clEvENKUlvE3_clEvEUllE_EEvT_T0_PN15function_traitsISD_E11result_typeE.has_recursion, 0
	.set _ZN12_GLOBAL__N_141elementwise_kernel_with_index_grid_strideIlZZZN2at6native14range_cuda_outERKN3c106ScalarES6_S6_RNS1_6TensorEENKUlvE_clEvENKUlvE3_clEvEUllE_EEvT_T0_PN15function_traitsISD_E11result_typeE.has_indirect_call, 0
	.section	.AMDGPU.csdata,"",@progbits
; Kernel info:
; codeLenInByte = 1360
; TotalNumSgprs: 29
; NumVgprs: 22
; ScratchSize: 0
; MemoryBound: 0
; FloatMode: 240
; IeeeMode: 1
; LDSByteSize: 0 bytes/workgroup (compile time only)
; SGPRBlocks: 3
; VGPRBlocks: 5
; NumSGPRsForWavesPerEU: 29
; NumVGPRsForWavesPerEU: 22
; Occupancy: 10
; WaveLimiterHint : 0
; COMPUTE_PGM_RSRC2:SCRATCH_EN: 0
; COMPUTE_PGM_RSRC2:USER_SGPR: 6
; COMPUTE_PGM_RSRC2:TRAP_HANDLER: 0
; COMPUTE_PGM_RSRC2:TGID_X_EN: 1
; COMPUTE_PGM_RSRC2:TGID_Y_EN: 0
; COMPUTE_PGM_RSRC2:TGID_Z_EN: 0
; COMPUTE_PGM_RSRC2:TIDIG_COMP_CNT: 0
	.section	.text._ZN12_GLOBAL__N_141elementwise_kernel_with_index_grid_strideIiZZZN2at6native14range_cuda_outERKN3c106ScalarES6_S6_RNS1_6TensorEENKUlvE_clEvENKUlvE4_clEvEUllE_EEvT_T0_PN15function_traitsISD_E11result_typeE,"axG",@progbits,_ZN12_GLOBAL__N_141elementwise_kernel_with_index_grid_strideIiZZZN2at6native14range_cuda_outERKN3c106ScalarES6_S6_RNS1_6TensorEENKUlvE_clEvENKUlvE4_clEvEUllE_EEvT_T0_PN15function_traitsISD_E11result_typeE,comdat
	.globl	_ZN12_GLOBAL__N_141elementwise_kernel_with_index_grid_strideIiZZZN2at6native14range_cuda_outERKN3c106ScalarES6_S6_RNS1_6TensorEENKUlvE_clEvENKUlvE4_clEvEUllE_EEvT_T0_PN15function_traitsISD_E11result_typeE ; -- Begin function _ZN12_GLOBAL__N_141elementwise_kernel_with_index_grid_strideIiZZZN2at6native14range_cuda_outERKN3c106ScalarES6_S6_RNS1_6TensorEENKUlvE_clEvENKUlvE4_clEvEUllE_EEvT_T0_PN15function_traitsISD_E11result_typeE
	.p2align	8
	.type	_ZN12_GLOBAL__N_141elementwise_kernel_with_index_grid_strideIiZZZN2at6native14range_cuda_outERKN3c106ScalarES6_S6_RNS1_6TensorEENKUlvE_clEvENKUlvE4_clEvEUllE_EEvT_T0_PN15function_traitsISD_E11result_typeE,@function
_ZN12_GLOBAL__N_141elementwise_kernel_with_index_grid_strideIiZZZN2at6native14range_cuda_outERKN3c106ScalarES6_S6_RNS1_6TensorEENKUlvE_clEvENKUlvE4_clEvEUllE_EEvT_T0_PN15function_traitsISD_E11result_typeE: ; @_ZN12_GLOBAL__N_141elementwise_kernel_with_index_grid_strideIiZZZN2at6native14range_cuda_outERKN3c106ScalarES6_S6_RNS1_6TensorEENKUlvE_clEvENKUlvE4_clEvEUllE_EEvT_T0_PN15function_traitsISD_E11result_typeE
; %bb.0:
	s_load_dword s0, s[4:5], 0x2c
	s_load_dword s10, s[4:5], 0x0
	s_add_u32 s8, s4, 32
	s_addc_u32 s9, s5, 0
	s_waitcnt lgkmcnt(0)
	s_and_b32 s7, s0, 0xffff
	s_mul_i32 s6, s6, s7
	v_add_u32_e32 v0, s6, v0
	v_cmp_gt_i32_e32 vcc, s10, v0
	s_and_saveexec_b64 s[0:1], vcc
	s_cbranch_execz .LBB56_3
; %bb.1:
	s_load_dword s6, s[8:9], 0x0
	s_load_dwordx2 s[12:13], s[4:5], 0x18
	s_load_dwordx4 s[0:3], s[4:5], 0x8
	v_ashrrev_i32_e32 v1, 31, v0
	v_lshlrev_b64 v[1:2], 3, v[0:1]
	s_waitcnt lgkmcnt(0)
	s_mul_i32 s4, s6, s7
	v_mov_b32_e32 v3, s13
	v_add_co_u32_e32 v1, vcc, s12, v1
	s_ashr_i32 s5, s4, 31
	v_addc_co_u32_e32 v2, vcc, v3, v2, vcc
	s_lshl_b64 s[6:7], s[4:5], 3
	v_mov_b32_e32 v4, s1
	s_mov_b64 s[8:9], 0
	v_mov_b32_e32 v3, s0
	v_mov_b32_e32 v5, s7
.LBB56_2:                               ; =>This Inner Loop Header: Depth=1
	v_cvt_f64_i32_e32 v[6:7], v0
	v_add_u32_e32 v0, s4, v0
	v_cmp_le_i32_e32 vcc, s10, v0
	s_or_b64 s[8:9], vcc, s[8:9]
	v_fma_f64 v[6:7], s[2:3], v[6:7], v[3:4]
	global_store_dwordx2 v[1:2], v[6:7], off
	v_add_co_u32_e32 v1, vcc, s6, v1
	v_addc_co_u32_e32 v2, vcc, v2, v5, vcc
	s_andn2_b64 exec, exec, s[8:9]
	s_cbranch_execnz .LBB56_2
.LBB56_3:
	s_endpgm
	.section	.rodata,"a",@progbits
	.p2align	6, 0x0
	.amdhsa_kernel _ZN12_GLOBAL__N_141elementwise_kernel_with_index_grid_strideIiZZZN2at6native14range_cuda_outERKN3c106ScalarES6_S6_RNS1_6TensorEENKUlvE_clEvENKUlvE4_clEvEUllE_EEvT_T0_PN15function_traitsISD_E11result_typeE
		.amdhsa_group_segment_fixed_size 0
		.amdhsa_private_segment_fixed_size 0
		.amdhsa_kernarg_size 288
		.amdhsa_user_sgpr_count 6
		.amdhsa_user_sgpr_private_segment_buffer 1
		.amdhsa_user_sgpr_dispatch_ptr 0
		.amdhsa_user_sgpr_queue_ptr 0
		.amdhsa_user_sgpr_kernarg_segment_ptr 1
		.amdhsa_user_sgpr_dispatch_id 0
		.amdhsa_user_sgpr_flat_scratch_init 0
		.amdhsa_user_sgpr_private_segment_size 0
		.amdhsa_uses_dynamic_stack 0
		.amdhsa_system_sgpr_private_segment_wavefront_offset 0
		.amdhsa_system_sgpr_workgroup_id_x 1
		.amdhsa_system_sgpr_workgroup_id_y 0
		.amdhsa_system_sgpr_workgroup_id_z 0
		.amdhsa_system_sgpr_workgroup_info 0
		.amdhsa_system_vgpr_workitem_id 0
		.amdhsa_next_free_vgpr 8
		.amdhsa_next_free_sgpr 14
		.amdhsa_reserve_vcc 1
		.amdhsa_reserve_flat_scratch 0
		.amdhsa_float_round_mode_32 0
		.amdhsa_float_round_mode_16_64 0
		.amdhsa_float_denorm_mode_32 3
		.amdhsa_float_denorm_mode_16_64 3
		.amdhsa_dx10_clamp 1
		.amdhsa_ieee_mode 1
		.amdhsa_fp16_overflow 0
		.amdhsa_exception_fp_ieee_invalid_op 0
		.amdhsa_exception_fp_denorm_src 0
		.amdhsa_exception_fp_ieee_div_zero 0
		.amdhsa_exception_fp_ieee_overflow 0
		.amdhsa_exception_fp_ieee_underflow 0
		.amdhsa_exception_fp_ieee_inexact 0
		.amdhsa_exception_int_div_zero 0
	.end_amdhsa_kernel
	.section	.text._ZN12_GLOBAL__N_141elementwise_kernel_with_index_grid_strideIiZZZN2at6native14range_cuda_outERKN3c106ScalarES6_S6_RNS1_6TensorEENKUlvE_clEvENKUlvE4_clEvEUllE_EEvT_T0_PN15function_traitsISD_E11result_typeE,"axG",@progbits,_ZN12_GLOBAL__N_141elementwise_kernel_with_index_grid_strideIiZZZN2at6native14range_cuda_outERKN3c106ScalarES6_S6_RNS1_6TensorEENKUlvE_clEvENKUlvE4_clEvEUllE_EEvT_T0_PN15function_traitsISD_E11result_typeE,comdat
.Lfunc_end56:
	.size	_ZN12_GLOBAL__N_141elementwise_kernel_with_index_grid_strideIiZZZN2at6native14range_cuda_outERKN3c106ScalarES6_S6_RNS1_6TensorEENKUlvE_clEvENKUlvE4_clEvEUllE_EEvT_T0_PN15function_traitsISD_E11result_typeE, .Lfunc_end56-_ZN12_GLOBAL__N_141elementwise_kernel_with_index_grid_strideIiZZZN2at6native14range_cuda_outERKN3c106ScalarES6_S6_RNS1_6TensorEENKUlvE_clEvENKUlvE4_clEvEUllE_EEvT_T0_PN15function_traitsISD_E11result_typeE
                                        ; -- End function
	.set _ZN12_GLOBAL__N_141elementwise_kernel_with_index_grid_strideIiZZZN2at6native14range_cuda_outERKN3c106ScalarES6_S6_RNS1_6TensorEENKUlvE_clEvENKUlvE4_clEvEUllE_EEvT_T0_PN15function_traitsISD_E11result_typeE.num_vgpr, 8
	.set _ZN12_GLOBAL__N_141elementwise_kernel_with_index_grid_strideIiZZZN2at6native14range_cuda_outERKN3c106ScalarES6_S6_RNS1_6TensorEENKUlvE_clEvENKUlvE4_clEvEUllE_EEvT_T0_PN15function_traitsISD_E11result_typeE.num_agpr, 0
	.set _ZN12_GLOBAL__N_141elementwise_kernel_with_index_grid_strideIiZZZN2at6native14range_cuda_outERKN3c106ScalarES6_S6_RNS1_6TensorEENKUlvE_clEvENKUlvE4_clEvEUllE_EEvT_T0_PN15function_traitsISD_E11result_typeE.numbered_sgpr, 14
	.set _ZN12_GLOBAL__N_141elementwise_kernel_with_index_grid_strideIiZZZN2at6native14range_cuda_outERKN3c106ScalarES6_S6_RNS1_6TensorEENKUlvE_clEvENKUlvE4_clEvEUllE_EEvT_T0_PN15function_traitsISD_E11result_typeE.num_named_barrier, 0
	.set _ZN12_GLOBAL__N_141elementwise_kernel_with_index_grid_strideIiZZZN2at6native14range_cuda_outERKN3c106ScalarES6_S6_RNS1_6TensorEENKUlvE_clEvENKUlvE4_clEvEUllE_EEvT_T0_PN15function_traitsISD_E11result_typeE.private_seg_size, 0
	.set _ZN12_GLOBAL__N_141elementwise_kernel_with_index_grid_strideIiZZZN2at6native14range_cuda_outERKN3c106ScalarES6_S6_RNS1_6TensorEENKUlvE_clEvENKUlvE4_clEvEUllE_EEvT_T0_PN15function_traitsISD_E11result_typeE.uses_vcc, 1
	.set _ZN12_GLOBAL__N_141elementwise_kernel_with_index_grid_strideIiZZZN2at6native14range_cuda_outERKN3c106ScalarES6_S6_RNS1_6TensorEENKUlvE_clEvENKUlvE4_clEvEUllE_EEvT_T0_PN15function_traitsISD_E11result_typeE.uses_flat_scratch, 0
	.set _ZN12_GLOBAL__N_141elementwise_kernel_with_index_grid_strideIiZZZN2at6native14range_cuda_outERKN3c106ScalarES6_S6_RNS1_6TensorEENKUlvE_clEvENKUlvE4_clEvEUllE_EEvT_T0_PN15function_traitsISD_E11result_typeE.has_dyn_sized_stack, 0
	.set _ZN12_GLOBAL__N_141elementwise_kernel_with_index_grid_strideIiZZZN2at6native14range_cuda_outERKN3c106ScalarES6_S6_RNS1_6TensorEENKUlvE_clEvENKUlvE4_clEvEUllE_EEvT_T0_PN15function_traitsISD_E11result_typeE.has_recursion, 0
	.set _ZN12_GLOBAL__N_141elementwise_kernel_with_index_grid_strideIiZZZN2at6native14range_cuda_outERKN3c106ScalarES6_S6_RNS1_6TensorEENKUlvE_clEvENKUlvE4_clEvEUllE_EEvT_T0_PN15function_traitsISD_E11result_typeE.has_indirect_call, 0
	.section	.AMDGPU.csdata,"",@progbits
; Kernel info:
; codeLenInByte = 188
; TotalNumSgprs: 18
; NumVgprs: 8
; ScratchSize: 0
; MemoryBound: 0
; FloatMode: 240
; IeeeMode: 1
; LDSByteSize: 0 bytes/workgroup (compile time only)
; SGPRBlocks: 2
; VGPRBlocks: 1
; NumSGPRsForWavesPerEU: 18
; NumVGPRsForWavesPerEU: 8
; Occupancy: 10
; WaveLimiterHint : 0
; COMPUTE_PGM_RSRC2:SCRATCH_EN: 0
; COMPUTE_PGM_RSRC2:USER_SGPR: 6
; COMPUTE_PGM_RSRC2:TRAP_HANDLER: 0
; COMPUTE_PGM_RSRC2:TGID_X_EN: 1
; COMPUTE_PGM_RSRC2:TGID_Y_EN: 0
; COMPUTE_PGM_RSRC2:TGID_Z_EN: 0
; COMPUTE_PGM_RSRC2:TIDIG_COMP_CNT: 0
	.section	.text._ZN12_GLOBAL__N_141elementwise_kernel_with_index_grid_strideIlZZZN2at6native14range_cuda_outERKN3c106ScalarES6_S6_RNS1_6TensorEENKUlvE_clEvENKUlvE4_clEvEUllE_EEvT_T0_PN15function_traitsISD_E11result_typeE,"axG",@progbits,_ZN12_GLOBAL__N_141elementwise_kernel_with_index_grid_strideIlZZZN2at6native14range_cuda_outERKN3c106ScalarES6_S6_RNS1_6TensorEENKUlvE_clEvENKUlvE4_clEvEUllE_EEvT_T0_PN15function_traitsISD_E11result_typeE,comdat
	.globl	_ZN12_GLOBAL__N_141elementwise_kernel_with_index_grid_strideIlZZZN2at6native14range_cuda_outERKN3c106ScalarES6_S6_RNS1_6TensorEENKUlvE_clEvENKUlvE4_clEvEUllE_EEvT_T0_PN15function_traitsISD_E11result_typeE ; -- Begin function _ZN12_GLOBAL__N_141elementwise_kernel_with_index_grid_strideIlZZZN2at6native14range_cuda_outERKN3c106ScalarES6_S6_RNS1_6TensorEENKUlvE_clEvENKUlvE4_clEvEUllE_EEvT_T0_PN15function_traitsISD_E11result_typeE
	.p2align	8
	.type	_ZN12_GLOBAL__N_141elementwise_kernel_with_index_grid_strideIlZZZN2at6native14range_cuda_outERKN3c106ScalarES6_S6_RNS1_6TensorEENKUlvE_clEvENKUlvE4_clEvEUllE_EEvT_T0_PN15function_traitsISD_E11result_typeE,@function
_ZN12_GLOBAL__N_141elementwise_kernel_with_index_grid_strideIlZZZN2at6native14range_cuda_outERKN3c106ScalarES6_S6_RNS1_6TensorEENKUlvE_clEvENKUlvE4_clEvEUllE_EEvT_T0_PN15function_traitsISD_E11result_typeE: ; @_ZN12_GLOBAL__N_141elementwise_kernel_with_index_grid_strideIlZZZN2at6native14range_cuda_outERKN3c106ScalarES6_S6_RNS1_6TensorEENKUlvE_clEvENKUlvE4_clEvEUllE_EEvT_T0_PN15function_traitsISD_E11result_typeE
; %bb.0:
	s_load_dword s2, s[4:5], 0x2c
	s_load_dwordx8 s[8:15], s[4:5], 0x0
	s_add_u32 s0, s4, 32
	s_addc_u32 s1, s5, 0
	v_mov_b32_e32 v1, 0
	s_waitcnt lgkmcnt(0)
	s_and_b32 s2, s2, 0xffff
	v_mov_b32_e32 v2, s6
	v_mad_u64_u32 v[0:1], s[4:5], s2, v2, v[0:1]
	v_cmp_gt_i64_e32 vcc, s[8:9], v[0:1]
	s_and_saveexec_b64 s[4:5], vcc
	s_cbranch_execz .LBB57_3
; %bb.1:
	s_load_dword s0, s[0:1], 0x0
	v_lshlrev_b64 v[2:3], 3, v[0:1]
	v_mov_b32_e32 v4, s15
	v_add_co_u32_e32 v2, vcc, s14, v2
	s_waitcnt lgkmcnt(0)
	s_mul_hi_u32 s1, s2, s0
	s_mul_i32 s0, s2, s0
	v_addc_co_u32_e32 v3, vcc, v4, v3, vcc
	s_lshl_b64 s[2:3], s[0:1], 3
	v_mov_b32_e32 v4, s10
	s_mov_b64 s[4:5], 0
	v_mov_b32_e32 v5, s11
	v_mov_b32_e32 v6, s1
	;; [unrolled: 1-line block ×3, first 2 shown]
.LBB57_2:                               ; =>This Inner Loop Header: Depth=1
	v_cvt_f64_u32_e32 v[8:9], v1
	v_cvt_f64_u32_e32 v[10:11], v0
	v_add_co_u32_e32 v0, vcc, s0, v0
	v_ldexp_f64 v[8:9], v[8:9], 32
	v_addc_co_u32_e32 v1, vcc, v1, v6, vcc
	v_cmp_le_i64_e32 vcc, s[8:9], v[0:1]
	s_or_b64 s[4:5], vcc, s[4:5]
	v_add_f64 v[8:9], v[8:9], v[10:11]
	v_fma_f64 v[8:9], s[12:13], v[8:9], v[4:5]
	global_store_dwordx2 v[2:3], v[8:9], off
	v_add_co_u32_e32 v2, vcc, s2, v2
	v_addc_co_u32_e32 v3, vcc, v3, v7, vcc
	s_andn2_b64 exec, exec, s[4:5]
	s_cbranch_execnz .LBB57_2
.LBB57_3:
	s_endpgm
	.section	.rodata,"a",@progbits
	.p2align	6, 0x0
	.amdhsa_kernel _ZN12_GLOBAL__N_141elementwise_kernel_with_index_grid_strideIlZZZN2at6native14range_cuda_outERKN3c106ScalarES6_S6_RNS1_6TensorEENKUlvE_clEvENKUlvE4_clEvEUllE_EEvT_T0_PN15function_traitsISD_E11result_typeE
		.amdhsa_group_segment_fixed_size 0
		.amdhsa_private_segment_fixed_size 0
		.amdhsa_kernarg_size 288
		.amdhsa_user_sgpr_count 6
		.amdhsa_user_sgpr_private_segment_buffer 1
		.amdhsa_user_sgpr_dispatch_ptr 0
		.amdhsa_user_sgpr_queue_ptr 0
		.amdhsa_user_sgpr_kernarg_segment_ptr 1
		.amdhsa_user_sgpr_dispatch_id 0
		.amdhsa_user_sgpr_flat_scratch_init 0
		.amdhsa_user_sgpr_private_segment_size 0
		.amdhsa_uses_dynamic_stack 0
		.amdhsa_system_sgpr_private_segment_wavefront_offset 0
		.amdhsa_system_sgpr_workgroup_id_x 1
		.amdhsa_system_sgpr_workgroup_id_y 0
		.amdhsa_system_sgpr_workgroup_id_z 0
		.amdhsa_system_sgpr_workgroup_info 0
		.amdhsa_system_vgpr_workitem_id 0
		.amdhsa_next_free_vgpr 12
		.amdhsa_next_free_sgpr 16
		.amdhsa_reserve_vcc 1
		.amdhsa_reserve_flat_scratch 0
		.amdhsa_float_round_mode_32 0
		.amdhsa_float_round_mode_16_64 0
		.amdhsa_float_denorm_mode_32 3
		.amdhsa_float_denorm_mode_16_64 3
		.amdhsa_dx10_clamp 1
		.amdhsa_ieee_mode 1
		.amdhsa_fp16_overflow 0
		.amdhsa_exception_fp_ieee_invalid_op 0
		.amdhsa_exception_fp_denorm_src 0
		.amdhsa_exception_fp_ieee_div_zero 0
		.amdhsa_exception_fp_ieee_overflow 0
		.amdhsa_exception_fp_ieee_underflow 0
		.amdhsa_exception_fp_ieee_inexact 0
		.amdhsa_exception_int_div_zero 0
	.end_amdhsa_kernel
	.section	.text._ZN12_GLOBAL__N_141elementwise_kernel_with_index_grid_strideIlZZZN2at6native14range_cuda_outERKN3c106ScalarES6_S6_RNS1_6TensorEENKUlvE_clEvENKUlvE4_clEvEUllE_EEvT_T0_PN15function_traitsISD_E11result_typeE,"axG",@progbits,_ZN12_GLOBAL__N_141elementwise_kernel_with_index_grid_strideIlZZZN2at6native14range_cuda_outERKN3c106ScalarES6_S6_RNS1_6TensorEENKUlvE_clEvENKUlvE4_clEvEUllE_EEvT_T0_PN15function_traitsISD_E11result_typeE,comdat
.Lfunc_end57:
	.size	_ZN12_GLOBAL__N_141elementwise_kernel_with_index_grid_strideIlZZZN2at6native14range_cuda_outERKN3c106ScalarES6_S6_RNS1_6TensorEENKUlvE_clEvENKUlvE4_clEvEUllE_EEvT_T0_PN15function_traitsISD_E11result_typeE, .Lfunc_end57-_ZN12_GLOBAL__N_141elementwise_kernel_with_index_grid_strideIlZZZN2at6native14range_cuda_outERKN3c106ScalarES6_S6_RNS1_6TensorEENKUlvE_clEvENKUlvE4_clEvEUllE_EEvT_T0_PN15function_traitsISD_E11result_typeE
                                        ; -- End function
	.set _ZN12_GLOBAL__N_141elementwise_kernel_with_index_grid_strideIlZZZN2at6native14range_cuda_outERKN3c106ScalarES6_S6_RNS1_6TensorEENKUlvE_clEvENKUlvE4_clEvEUllE_EEvT_T0_PN15function_traitsISD_E11result_typeE.num_vgpr, 12
	.set _ZN12_GLOBAL__N_141elementwise_kernel_with_index_grid_strideIlZZZN2at6native14range_cuda_outERKN3c106ScalarES6_S6_RNS1_6TensorEENKUlvE_clEvENKUlvE4_clEvEUllE_EEvT_T0_PN15function_traitsISD_E11result_typeE.num_agpr, 0
	.set _ZN12_GLOBAL__N_141elementwise_kernel_with_index_grid_strideIlZZZN2at6native14range_cuda_outERKN3c106ScalarES6_S6_RNS1_6TensorEENKUlvE_clEvENKUlvE4_clEvEUllE_EEvT_T0_PN15function_traitsISD_E11result_typeE.numbered_sgpr, 16
	.set _ZN12_GLOBAL__N_141elementwise_kernel_with_index_grid_strideIlZZZN2at6native14range_cuda_outERKN3c106ScalarES6_S6_RNS1_6TensorEENKUlvE_clEvENKUlvE4_clEvEUllE_EEvT_T0_PN15function_traitsISD_E11result_typeE.num_named_barrier, 0
	.set _ZN12_GLOBAL__N_141elementwise_kernel_with_index_grid_strideIlZZZN2at6native14range_cuda_outERKN3c106ScalarES6_S6_RNS1_6TensorEENKUlvE_clEvENKUlvE4_clEvEUllE_EEvT_T0_PN15function_traitsISD_E11result_typeE.private_seg_size, 0
	.set _ZN12_GLOBAL__N_141elementwise_kernel_with_index_grid_strideIlZZZN2at6native14range_cuda_outERKN3c106ScalarES6_S6_RNS1_6TensorEENKUlvE_clEvENKUlvE4_clEvEUllE_EEvT_T0_PN15function_traitsISD_E11result_typeE.uses_vcc, 1
	.set _ZN12_GLOBAL__N_141elementwise_kernel_with_index_grid_strideIlZZZN2at6native14range_cuda_outERKN3c106ScalarES6_S6_RNS1_6TensorEENKUlvE_clEvENKUlvE4_clEvEUllE_EEvT_T0_PN15function_traitsISD_E11result_typeE.uses_flat_scratch, 0
	.set _ZN12_GLOBAL__N_141elementwise_kernel_with_index_grid_strideIlZZZN2at6native14range_cuda_outERKN3c106ScalarES6_S6_RNS1_6TensorEENKUlvE_clEvENKUlvE4_clEvEUllE_EEvT_T0_PN15function_traitsISD_E11result_typeE.has_dyn_sized_stack, 0
	.set _ZN12_GLOBAL__N_141elementwise_kernel_with_index_grid_strideIlZZZN2at6native14range_cuda_outERKN3c106ScalarES6_S6_RNS1_6TensorEENKUlvE_clEvENKUlvE4_clEvEUllE_EEvT_T0_PN15function_traitsISD_E11result_typeE.has_recursion, 0
	.set _ZN12_GLOBAL__N_141elementwise_kernel_with_index_grid_strideIlZZZN2at6native14range_cuda_outERKN3c106ScalarES6_S6_RNS1_6TensorEENKUlvE_clEvENKUlvE4_clEvEUllE_EEvT_T0_PN15function_traitsISD_E11result_typeE.has_indirect_call, 0
	.section	.AMDGPU.csdata,"",@progbits
; Kernel info:
; codeLenInByte = 204
; TotalNumSgprs: 20
; NumVgprs: 12
; ScratchSize: 0
; MemoryBound: 0
; FloatMode: 240
; IeeeMode: 1
; LDSByteSize: 0 bytes/workgroup (compile time only)
; SGPRBlocks: 2
; VGPRBlocks: 2
; NumSGPRsForWavesPerEU: 20
; NumVGPRsForWavesPerEU: 12
; Occupancy: 10
; WaveLimiterHint : 0
; COMPUTE_PGM_RSRC2:SCRATCH_EN: 0
; COMPUTE_PGM_RSRC2:USER_SGPR: 6
; COMPUTE_PGM_RSRC2:TRAP_HANDLER: 0
; COMPUTE_PGM_RSRC2:TGID_X_EN: 1
; COMPUTE_PGM_RSRC2:TGID_Y_EN: 0
; COMPUTE_PGM_RSRC2:TGID_Z_EN: 0
; COMPUTE_PGM_RSRC2:TIDIG_COMP_CNT: 0
	.section	.text._ZN12_GLOBAL__N_141elementwise_kernel_with_index_grid_strideIiZZZN2at6native14range_cuda_outERKN3c106ScalarES6_S6_RNS1_6TensorEENKUlvE_clEvENKUlvE5_clEvEUllE_EEvT_T0_PN15function_traitsISD_E11result_typeE,"axG",@progbits,_ZN12_GLOBAL__N_141elementwise_kernel_with_index_grid_strideIiZZZN2at6native14range_cuda_outERKN3c106ScalarES6_S6_RNS1_6TensorEENKUlvE_clEvENKUlvE5_clEvEUllE_EEvT_T0_PN15function_traitsISD_E11result_typeE,comdat
	.globl	_ZN12_GLOBAL__N_141elementwise_kernel_with_index_grid_strideIiZZZN2at6native14range_cuda_outERKN3c106ScalarES6_S6_RNS1_6TensorEENKUlvE_clEvENKUlvE5_clEvEUllE_EEvT_T0_PN15function_traitsISD_E11result_typeE ; -- Begin function _ZN12_GLOBAL__N_141elementwise_kernel_with_index_grid_strideIiZZZN2at6native14range_cuda_outERKN3c106ScalarES6_S6_RNS1_6TensorEENKUlvE_clEvENKUlvE5_clEvEUllE_EEvT_T0_PN15function_traitsISD_E11result_typeE
	.p2align	8
	.type	_ZN12_GLOBAL__N_141elementwise_kernel_with_index_grid_strideIiZZZN2at6native14range_cuda_outERKN3c106ScalarES6_S6_RNS1_6TensorEENKUlvE_clEvENKUlvE5_clEvEUllE_EEvT_T0_PN15function_traitsISD_E11result_typeE,@function
_ZN12_GLOBAL__N_141elementwise_kernel_with_index_grid_strideIiZZZN2at6native14range_cuda_outERKN3c106ScalarES6_S6_RNS1_6TensorEENKUlvE_clEvENKUlvE5_clEvEUllE_EEvT_T0_PN15function_traitsISD_E11result_typeE: ; @_ZN12_GLOBAL__N_141elementwise_kernel_with_index_grid_strideIiZZZN2at6native14range_cuda_outERKN3c106ScalarES6_S6_RNS1_6TensorEENKUlvE_clEvENKUlvE5_clEvEUllE_EEvT_T0_PN15function_traitsISD_E11result_typeE
; %bb.0:
	s_load_dword s7, s[4:5], 0x24
	s_load_dwordx4 s[0:3], s[4:5], 0x0
	s_add_u32 s8, s4, 24
	s_addc_u32 s9, s5, 0
	s_waitcnt lgkmcnt(0)
	s_and_b32 s3, s7, 0xffff
	s_mul_i32 s6, s6, s3
	v_add_u32_e32 v0, s6, v0
	v_cmp_gt_i32_e32 vcc, s0, v0
	s_and_saveexec_b64 s[6:7], vcc
	s_cbranch_execz .LBB58_3
; %bb.1:
	s_load_dword s10, s[8:9], 0x0
	s_load_dwordx2 s[6:7], s[4:5], 0x10
	v_ashrrev_i32_e32 v1, 31, v0
	v_lshlrev_b64 v[1:2], 2, v[0:1]
	s_mov_b64 s[8:9], 0
	s_waitcnt lgkmcnt(0)
	s_mul_i32 s4, s10, s3
	s_ashr_i32 s5, s4, 31
	v_mov_b32_e32 v3, s7
	v_add_co_u32_e32 v1, vcc, s6, v1
	s_lshl_b64 s[6:7], s[4:5], 2
	v_addc_co_u32_e32 v2, vcc, v3, v2, vcc
	v_mov_b32_e32 v3, s1
	v_mov_b32_e32 v4, s7
.LBB58_2:                               ; =>This Inner Loop Header: Depth=1
	v_cvt_f32_i32_e32 v5, v0
	v_add_u32_e32 v0, s4, v0
	v_cmp_le_i32_e32 vcc, s0, v0
	s_or_b64 s[8:9], vcc, s[8:9]
	v_fma_f32 v5, s2, v5, v3
	global_store_dword v[1:2], v5, off
	v_add_co_u32_e32 v1, vcc, s6, v1
	v_addc_co_u32_e32 v2, vcc, v2, v4, vcc
	s_andn2_b64 exec, exec, s[8:9]
	s_cbranch_execnz .LBB58_2
.LBB58_3:
	s_endpgm
	.section	.rodata,"a",@progbits
	.p2align	6, 0x0
	.amdhsa_kernel _ZN12_GLOBAL__N_141elementwise_kernel_with_index_grid_strideIiZZZN2at6native14range_cuda_outERKN3c106ScalarES6_S6_RNS1_6TensorEENKUlvE_clEvENKUlvE5_clEvEUllE_EEvT_T0_PN15function_traitsISD_E11result_typeE
		.amdhsa_group_segment_fixed_size 0
		.amdhsa_private_segment_fixed_size 0
		.amdhsa_kernarg_size 280
		.amdhsa_user_sgpr_count 6
		.amdhsa_user_sgpr_private_segment_buffer 1
		.amdhsa_user_sgpr_dispatch_ptr 0
		.amdhsa_user_sgpr_queue_ptr 0
		.amdhsa_user_sgpr_kernarg_segment_ptr 1
		.amdhsa_user_sgpr_dispatch_id 0
		.amdhsa_user_sgpr_flat_scratch_init 0
		.amdhsa_user_sgpr_private_segment_size 0
		.amdhsa_uses_dynamic_stack 0
		.amdhsa_system_sgpr_private_segment_wavefront_offset 0
		.amdhsa_system_sgpr_workgroup_id_x 1
		.amdhsa_system_sgpr_workgroup_id_y 0
		.amdhsa_system_sgpr_workgroup_id_z 0
		.amdhsa_system_sgpr_workgroup_info 0
		.amdhsa_system_vgpr_workitem_id 0
		.amdhsa_next_free_vgpr 6
		.amdhsa_next_free_sgpr 11
		.amdhsa_reserve_vcc 1
		.amdhsa_reserve_flat_scratch 0
		.amdhsa_float_round_mode_32 0
		.amdhsa_float_round_mode_16_64 0
		.amdhsa_float_denorm_mode_32 3
		.amdhsa_float_denorm_mode_16_64 3
		.amdhsa_dx10_clamp 1
		.amdhsa_ieee_mode 1
		.amdhsa_fp16_overflow 0
		.amdhsa_exception_fp_ieee_invalid_op 0
		.amdhsa_exception_fp_denorm_src 0
		.amdhsa_exception_fp_ieee_div_zero 0
		.amdhsa_exception_fp_ieee_overflow 0
		.amdhsa_exception_fp_ieee_underflow 0
		.amdhsa_exception_fp_ieee_inexact 0
		.amdhsa_exception_int_div_zero 0
	.end_amdhsa_kernel
	.section	.text._ZN12_GLOBAL__N_141elementwise_kernel_with_index_grid_strideIiZZZN2at6native14range_cuda_outERKN3c106ScalarES6_S6_RNS1_6TensorEENKUlvE_clEvENKUlvE5_clEvEUllE_EEvT_T0_PN15function_traitsISD_E11result_typeE,"axG",@progbits,_ZN12_GLOBAL__N_141elementwise_kernel_with_index_grid_strideIiZZZN2at6native14range_cuda_outERKN3c106ScalarES6_S6_RNS1_6TensorEENKUlvE_clEvENKUlvE5_clEvEUllE_EEvT_T0_PN15function_traitsISD_E11result_typeE,comdat
.Lfunc_end58:
	.size	_ZN12_GLOBAL__N_141elementwise_kernel_with_index_grid_strideIiZZZN2at6native14range_cuda_outERKN3c106ScalarES6_S6_RNS1_6TensorEENKUlvE_clEvENKUlvE5_clEvEUllE_EEvT_T0_PN15function_traitsISD_E11result_typeE, .Lfunc_end58-_ZN12_GLOBAL__N_141elementwise_kernel_with_index_grid_strideIiZZZN2at6native14range_cuda_outERKN3c106ScalarES6_S6_RNS1_6TensorEENKUlvE_clEvENKUlvE5_clEvEUllE_EEvT_T0_PN15function_traitsISD_E11result_typeE
                                        ; -- End function
	.set _ZN12_GLOBAL__N_141elementwise_kernel_with_index_grid_strideIiZZZN2at6native14range_cuda_outERKN3c106ScalarES6_S6_RNS1_6TensorEENKUlvE_clEvENKUlvE5_clEvEUllE_EEvT_T0_PN15function_traitsISD_E11result_typeE.num_vgpr, 6
	.set _ZN12_GLOBAL__N_141elementwise_kernel_with_index_grid_strideIiZZZN2at6native14range_cuda_outERKN3c106ScalarES6_S6_RNS1_6TensorEENKUlvE_clEvENKUlvE5_clEvEUllE_EEvT_T0_PN15function_traitsISD_E11result_typeE.num_agpr, 0
	.set _ZN12_GLOBAL__N_141elementwise_kernel_with_index_grid_strideIiZZZN2at6native14range_cuda_outERKN3c106ScalarES6_S6_RNS1_6TensorEENKUlvE_clEvENKUlvE5_clEvEUllE_EEvT_T0_PN15function_traitsISD_E11result_typeE.numbered_sgpr, 11
	.set _ZN12_GLOBAL__N_141elementwise_kernel_with_index_grid_strideIiZZZN2at6native14range_cuda_outERKN3c106ScalarES6_S6_RNS1_6TensorEENKUlvE_clEvENKUlvE5_clEvEUllE_EEvT_T0_PN15function_traitsISD_E11result_typeE.num_named_barrier, 0
	.set _ZN12_GLOBAL__N_141elementwise_kernel_with_index_grid_strideIiZZZN2at6native14range_cuda_outERKN3c106ScalarES6_S6_RNS1_6TensorEENKUlvE_clEvENKUlvE5_clEvEUllE_EEvT_T0_PN15function_traitsISD_E11result_typeE.private_seg_size, 0
	.set _ZN12_GLOBAL__N_141elementwise_kernel_with_index_grid_strideIiZZZN2at6native14range_cuda_outERKN3c106ScalarES6_S6_RNS1_6TensorEENKUlvE_clEvENKUlvE5_clEvEUllE_EEvT_T0_PN15function_traitsISD_E11result_typeE.uses_vcc, 1
	.set _ZN12_GLOBAL__N_141elementwise_kernel_with_index_grid_strideIiZZZN2at6native14range_cuda_outERKN3c106ScalarES6_S6_RNS1_6TensorEENKUlvE_clEvENKUlvE5_clEvEUllE_EEvT_T0_PN15function_traitsISD_E11result_typeE.uses_flat_scratch, 0
	.set _ZN12_GLOBAL__N_141elementwise_kernel_with_index_grid_strideIiZZZN2at6native14range_cuda_outERKN3c106ScalarES6_S6_RNS1_6TensorEENKUlvE_clEvENKUlvE5_clEvEUllE_EEvT_T0_PN15function_traitsISD_E11result_typeE.has_dyn_sized_stack, 0
	.set _ZN12_GLOBAL__N_141elementwise_kernel_with_index_grid_strideIiZZZN2at6native14range_cuda_outERKN3c106ScalarES6_S6_RNS1_6TensorEENKUlvE_clEvENKUlvE5_clEvEUllE_EEvT_T0_PN15function_traitsISD_E11result_typeE.has_recursion, 0
	.set _ZN12_GLOBAL__N_141elementwise_kernel_with_index_grid_strideIiZZZN2at6native14range_cuda_outERKN3c106ScalarES6_S6_RNS1_6TensorEENKUlvE_clEvENKUlvE5_clEvEUllE_EEvT_T0_PN15function_traitsISD_E11result_typeE.has_indirect_call, 0
	.section	.AMDGPU.csdata,"",@progbits
; Kernel info:
; codeLenInByte = 176
; TotalNumSgprs: 15
; NumVgprs: 6
; ScratchSize: 0
; MemoryBound: 0
; FloatMode: 240
; IeeeMode: 1
; LDSByteSize: 0 bytes/workgroup (compile time only)
; SGPRBlocks: 1
; VGPRBlocks: 1
; NumSGPRsForWavesPerEU: 15
; NumVGPRsForWavesPerEU: 6
; Occupancy: 10
; WaveLimiterHint : 0
; COMPUTE_PGM_RSRC2:SCRATCH_EN: 0
; COMPUTE_PGM_RSRC2:USER_SGPR: 6
; COMPUTE_PGM_RSRC2:TRAP_HANDLER: 0
; COMPUTE_PGM_RSRC2:TGID_X_EN: 1
; COMPUTE_PGM_RSRC2:TGID_Y_EN: 0
; COMPUTE_PGM_RSRC2:TGID_Z_EN: 0
; COMPUTE_PGM_RSRC2:TIDIG_COMP_CNT: 0
	.section	.text._ZN12_GLOBAL__N_141elementwise_kernel_with_index_grid_strideIlZZZN2at6native14range_cuda_outERKN3c106ScalarES6_S6_RNS1_6TensorEENKUlvE_clEvENKUlvE5_clEvEUllE_EEvT_T0_PN15function_traitsISD_E11result_typeE,"axG",@progbits,_ZN12_GLOBAL__N_141elementwise_kernel_with_index_grid_strideIlZZZN2at6native14range_cuda_outERKN3c106ScalarES6_S6_RNS1_6TensorEENKUlvE_clEvENKUlvE5_clEvEUllE_EEvT_T0_PN15function_traitsISD_E11result_typeE,comdat
	.globl	_ZN12_GLOBAL__N_141elementwise_kernel_with_index_grid_strideIlZZZN2at6native14range_cuda_outERKN3c106ScalarES6_S6_RNS1_6TensorEENKUlvE_clEvENKUlvE5_clEvEUllE_EEvT_T0_PN15function_traitsISD_E11result_typeE ; -- Begin function _ZN12_GLOBAL__N_141elementwise_kernel_with_index_grid_strideIlZZZN2at6native14range_cuda_outERKN3c106ScalarES6_S6_RNS1_6TensorEENKUlvE_clEvENKUlvE5_clEvEUllE_EEvT_T0_PN15function_traitsISD_E11result_typeE
	.p2align	8
	.type	_ZN12_GLOBAL__N_141elementwise_kernel_with_index_grid_strideIlZZZN2at6native14range_cuda_outERKN3c106ScalarES6_S6_RNS1_6TensorEENKUlvE_clEvENKUlvE5_clEvEUllE_EEvT_T0_PN15function_traitsISD_E11result_typeE,@function
_ZN12_GLOBAL__N_141elementwise_kernel_with_index_grid_strideIlZZZN2at6native14range_cuda_outERKN3c106ScalarES6_S6_RNS1_6TensorEENKUlvE_clEvENKUlvE5_clEvEUllE_EEvT_T0_PN15function_traitsISD_E11result_typeE: ; @_ZN12_GLOBAL__N_141elementwise_kernel_with_index_grid_strideIlZZZN2at6native14range_cuda_outERKN3c106ScalarES6_S6_RNS1_6TensorEENKUlvE_clEvENKUlvE5_clEvEUllE_EEvT_T0_PN15function_traitsISD_E11result_typeE
; %bb.0:
	s_load_dword s0, s[4:5], 0x24
	s_load_dwordx2 s[8:9], s[4:5], 0x0
	s_add_u32 s10, s4, 24
	s_addc_u32 s11, s5, 0
	v_mov_b32_e32 v1, 0
	s_waitcnt lgkmcnt(0)
	s_and_b32 s7, s0, 0xffff
	v_mov_b32_e32 v2, s6
	v_mad_u64_u32 v[0:1], s[0:1], s7, v2, v[0:1]
	v_cmp_gt_i64_e32 vcc, s[8:9], v[0:1]
	s_and_saveexec_b64 s[0:1], vcc
	s_cbranch_execz .LBB59_3
; %bb.1:
	s_load_dword s6, s[10:11], 0x0
	s_load_dwordx4 s[0:3], s[4:5], 0x8
	v_lshlrev_b64 v[2:3], 2, v[0:1]
	s_waitcnt lgkmcnt(0)
	s_mul_hi_u32 s5, s7, s6
	s_mul_i32 s4, s7, s6
	v_mov_b32_e32 v4, s3
	v_add_co_u32_e32 v2, vcc, s2, v2
	s_lshl_b64 s[2:3], s[4:5], 2
	v_addc_co_u32_e32 v3, vcc, v4, v3, vcc
	s_mov_b64 s[6:7], 0
	v_mov_b32_e32 v4, s0
	v_mov_b32_e32 v5, s5
	;; [unrolled: 1-line block ×3, first 2 shown]
.LBB59_2:                               ; =>This Inner Loop Header: Depth=1
	v_ffbh_u32_e32 v7, v1
	v_min_u32_e32 v9, 32, v7
	v_lshlrev_b64 v[7:8], v9, v[0:1]
	v_add_co_u32_e32 v0, vcc, s4, v0
	v_min_u32_e32 v7, 1, v7
	v_or_b32_e32 v7, v8, v7
	v_cvt_f32_u32_e32 v7, v7
	v_sub_u32_e32 v9, 32, v9
	v_addc_co_u32_e32 v1, vcc, v1, v5, vcc
	v_cmp_le_i64_e32 vcc, s[8:9], v[0:1]
	v_ldexp_f32 v7, v7, v9
	v_fma_f32 v7, s1, v7, v4
	s_or_b64 s[6:7], vcc, s[6:7]
	global_store_dword v[2:3], v7, off
	v_add_co_u32_e32 v2, vcc, s2, v2
	v_addc_co_u32_e32 v3, vcc, v3, v6, vcc
	s_andn2_b64 exec, exec, s[6:7]
	s_cbranch_execnz .LBB59_2
.LBB59_3:
	s_endpgm
	.section	.rodata,"a",@progbits
	.p2align	6, 0x0
	.amdhsa_kernel _ZN12_GLOBAL__N_141elementwise_kernel_with_index_grid_strideIlZZZN2at6native14range_cuda_outERKN3c106ScalarES6_S6_RNS1_6TensorEENKUlvE_clEvENKUlvE5_clEvEUllE_EEvT_T0_PN15function_traitsISD_E11result_typeE
		.amdhsa_group_segment_fixed_size 0
		.amdhsa_private_segment_fixed_size 0
		.amdhsa_kernarg_size 280
		.amdhsa_user_sgpr_count 6
		.amdhsa_user_sgpr_private_segment_buffer 1
		.amdhsa_user_sgpr_dispatch_ptr 0
		.amdhsa_user_sgpr_queue_ptr 0
		.amdhsa_user_sgpr_kernarg_segment_ptr 1
		.amdhsa_user_sgpr_dispatch_id 0
		.amdhsa_user_sgpr_flat_scratch_init 0
		.amdhsa_user_sgpr_private_segment_size 0
		.amdhsa_uses_dynamic_stack 0
		.amdhsa_system_sgpr_private_segment_wavefront_offset 0
		.amdhsa_system_sgpr_workgroup_id_x 1
		.amdhsa_system_sgpr_workgroup_id_y 0
		.amdhsa_system_sgpr_workgroup_id_z 0
		.amdhsa_system_sgpr_workgroup_info 0
		.amdhsa_system_vgpr_workitem_id 0
		.amdhsa_next_free_vgpr 10
		.amdhsa_next_free_sgpr 12
		.amdhsa_reserve_vcc 1
		.amdhsa_reserve_flat_scratch 0
		.amdhsa_float_round_mode_32 0
		.amdhsa_float_round_mode_16_64 0
		.amdhsa_float_denorm_mode_32 3
		.amdhsa_float_denorm_mode_16_64 3
		.amdhsa_dx10_clamp 1
		.amdhsa_ieee_mode 1
		.amdhsa_fp16_overflow 0
		.amdhsa_exception_fp_ieee_invalid_op 0
		.amdhsa_exception_fp_denorm_src 0
		.amdhsa_exception_fp_ieee_div_zero 0
		.amdhsa_exception_fp_ieee_overflow 0
		.amdhsa_exception_fp_ieee_underflow 0
		.amdhsa_exception_fp_ieee_inexact 0
		.amdhsa_exception_int_div_zero 0
	.end_amdhsa_kernel
	.section	.text._ZN12_GLOBAL__N_141elementwise_kernel_with_index_grid_strideIlZZZN2at6native14range_cuda_outERKN3c106ScalarES6_S6_RNS1_6TensorEENKUlvE_clEvENKUlvE5_clEvEUllE_EEvT_T0_PN15function_traitsISD_E11result_typeE,"axG",@progbits,_ZN12_GLOBAL__N_141elementwise_kernel_with_index_grid_strideIlZZZN2at6native14range_cuda_outERKN3c106ScalarES6_S6_RNS1_6TensorEENKUlvE_clEvENKUlvE5_clEvEUllE_EEvT_T0_PN15function_traitsISD_E11result_typeE,comdat
.Lfunc_end59:
	.size	_ZN12_GLOBAL__N_141elementwise_kernel_with_index_grid_strideIlZZZN2at6native14range_cuda_outERKN3c106ScalarES6_S6_RNS1_6TensorEENKUlvE_clEvENKUlvE5_clEvEUllE_EEvT_T0_PN15function_traitsISD_E11result_typeE, .Lfunc_end59-_ZN12_GLOBAL__N_141elementwise_kernel_with_index_grid_strideIlZZZN2at6native14range_cuda_outERKN3c106ScalarES6_S6_RNS1_6TensorEENKUlvE_clEvENKUlvE5_clEvEUllE_EEvT_T0_PN15function_traitsISD_E11result_typeE
                                        ; -- End function
	.set _ZN12_GLOBAL__N_141elementwise_kernel_with_index_grid_strideIlZZZN2at6native14range_cuda_outERKN3c106ScalarES6_S6_RNS1_6TensorEENKUlvE_clEvENKUlvE5_clEvEUllE_EEvT_T0_PN15function_traitsISD_E11result_typeE.num_vgpr, 10
	.set _ZN12_GLOBAL__N_141elementwise_kernel_with_index_grid_strideIlZZZN2at6native14range_cuda_outERKN3c106ScalarES6_S6_RNS1_6TensorEENKUlvE_clEvENKUlvE5_clEvEUllE_EEvT_T0_PN15function_traitsISD_E11result_typeE.num_agpr, 0
	.set _ZN12_GLOBAL__N_141elementwise_kernel_with_index_grid_strideIlZZZN2at6native14range_cuda_outERKN3c106ScalarES6_S6_RNS1_6TensorEENKUlvE_clEvENKUlvE5_clEvEUllE_EEvT_T0_PN15function_traitsISD_E11result_typeE.numbered_sgpr, 12
	.set _ZN12_GLOBAL__N_141elementwise_kernel_with_index_grid_strideIlZZZN2at6native14range_cuda_outERKN3c106ScalarES6_S6_RNS1_6TensorEENKUlvE_clEvENKUlvE5_clEvEUllE_EEvT_T0_PN15function_traitsISD_E11result_typeE.num_named_barrier, 0
	.set _ZN12_GLOBAL__N_141elementwise_kernel_with_index_grid_strideIlZZZN2at6native14range_cuda_outERKN3c106ScalarES6_S6_RNS1_6TensorEENKUlvE_clEvENKUlvE5_clEvEUllE_EEvT_T0_PN15function_traitsISD_E11result_typeE.private_seg_size, 0
	.set _ZN12_GLOBAL__N_141elementwise_kernel_with_index_grid_strideIlZZZN2at6native14range_cuda_outERKN3c106ScalarES6_S6_RNS1_6TensorEENKUlvE_clEvENKUlvE5_clEvEUllE_EEvT_T0_PN15function_traitsISD_E11result_typeE.uses_vcc, 1
	.set _ZN12_GLOBAL__N_141elementwise_kernel_with_index_grid_strideIlZZZN2at6native14range_cuda_outERKN3c106ScalarES6_S6_RNS1_6TensorEENKUlvE_clEvENKUlvE5_clEvEUllE_EEvT_T0_PN15function_traitsISD_E11result_typeE.uses_flat_scratch, 0
	.set _ZN12_GLOBAL__N_141elementwise_kernel_with_index_grid_strideIlZZZN2at6native14range_cuda_outERKN3c106ScalarES6_S6_RNS1_6TensorEENKUlvE_clEvENKUlvE5_clEvEUllE_EEvT_T0_PN15function_traitsISD_E11result_typeE.has_dyn_sized_stack, 0
	.set _ZN12_GLOBAL__N_141elementwise_kernel_with_index_grid_strideIlZZZN2at6native14range_cuda_outERKN3c106ScalarES6_S6_RNS1_6TensorEENKUlvE_clEvENKUlvE5_clEvEUllE_EEvT_T0_PN15function_traitsISD_E11result_typeE.has_recursion, 0
	.set _ZN12_GLOBAL__N_141elementwise_kernel_with_index_grid_strideIlZZZN2at6native14range_cuda_outERKN3c106ScalarES6_S6_RNS1_6TensorEENKUlvE_clEvENKUlvE5_clEvEUllE_EEvT_T0_PN15function_traitsISD_E11result_typeE.has_indirect_call, 0
	.section	.AMDGPU.csdata,"",@progbits
; Kernel info:
; codeLenInByte = 224
; TotalNumSgprs: 16
; NumVgprs: 10
; ScratchSize: 0
; MemoryBound: 0
; FloatMode: 240
; IeeeMode: 1
; LDSByteSize: 0 bytes/workgroup (compile time only)
; SGPRBlocks: 1
; VGPRBlocks: 2
; NumSGPRsForWavesPerEU: 16
; NumVGPRsForWavesPerEU: 10
; Occupancy: 10
; WaveLimiterHint : 0
; COMPUTE_PGM_RSRC2:SCRATCH_EN: 0
; COMPUTE_PGM_RSRC2:USER_SGPR: 6
; COMPUTE_PGM_RSRC2:TRAP_HANDLER: 0
; COMPUTE_PGM_RSRC2:TGID_X_EN: 1
; COMPUTE_PGM_RSRC2:TGID_Y_EN: 0
; COMPUTE_PGM_RSRC2:TGID_Z_EN: 0
; COMPUTE_PGM_RSRC2:TIDIG_COMP_CNT: 0
	.section	.text._ZN12_GLOBAL__N_141elementwise_kernel_with_index_grid_strideIiZZZN2at6native14range_cuda_outERKN3c106ScalarES6_S6_RNS1_6TensorEENKUlvE_clEvENKUlvE6_clEvEUllE_EEvT_T0_PN15function_traitsISD_E11result_typeE,"axG",@progbits,_ZN12_GLOBAL__N_141elementwise_kernel_with_index_grid_strideIiZZZN2at6native14range_cuda_outERKN3c106ScalarES6_S6_RNS1_6TensorEENKUlvE_clEvENKUlvE6_clEvEUllE_EEvT_T0_PN15function_traitsISD_E11result_typeE,comdat
	.globl	_ZN12_GLOBAL__N_141elementwise_kernel_with_index_grid_strideIiZZZN2at6native14range_cuda_outERKN3c106ScalarES6_S6_RNS1_6TensorEENKUlvE_clEvENKUlvE6_clEvEUllE_EEvT_T0_PN15function_traitsISD_E11result_typeE ; -- Begin function _ZN12_GLOBAL__N_141elementwise_kernel_with_index_grid_strideIiZZZN2at6native14range_cuda_outERKN3c106ScalarES6_S6_RNS1_6TensorEENKUlvE_clEvENKUlvE6_clEvEUllE_EEvT_T0_PN15function_traitsISD_E11result_typeE
	.p2align	8
	.type	_ZN12_GLOBAL__N_141elementwise_kernel_with_index_grid_strideIiZZZN2at6native14range_cuda_outERKN3c106ScalarES6_S6_RNS1_6TensorEENKUlvE_clEvENKUlvE6_clEvEUllE_EEvT_T0_PN15function_traitsISD_E11result_typeE,@function
_ZN12_GLOBAL__N_141elementwise_kernel_with_index_grid_strideIiZZZN2at6native14range_cuda_outERKN3c106ScalarES6_S6_RNS1_6TensorEENKUlvE_clEvENKUlvE6_clEvEUllE_EEvT_T0_PN15function_traitsISD_E11result_typeE: ; @_ZN12_GLOBAL__N_141elementwise_kernel_with_index_grid_strideIiZZZN2at6native14range_cuda_outERKN3c106ScalarES6_S6_RNS1_6TensorEENKUlvE_clEvENKUlvE6_clEvEUllE_EEvT_T0_PN15function_traitsISD_E11result_typeE
; %bb.0:
	s_load_dword s2, s[4:5], 0x24
	s_load_dwordx4 s[8:11], s[4:5], 0x0
	s_add_u32 s0, s4, 24
	s_addc_u32 s1, s5, 0
	s_waitcnt lgkmcnt(0)
	s_and_b32 s3, s2, 0xffff
	s_mul_i32 s2, s6, s3
	v_add_u32_e32 v1, s2, v0
	v_cmp_gt_i32_e32 vcc, s8, v1
	s_and_saveexec_b64 s[12:13], vcc
	s_cbranch_execz .LBB60_8
; %bb.1:
	s_load_dword s0, s[0:1], 0x0
	s_waitcnt lgkmcnt(0)
	s_mul_i32 s2, s0, s3
	v_cvt_f32_u32_e32 v2, s2
	s_sub_i32 s1, 0, s2
	s_add_i32 s0, s6, s0
	s_mul_i32 s0, s0, s3
	v_rcp_iflag_f32_e32 v2, v2
	v_add_u32_e32 v4, s0, v0
	v_mov_b32_e32 v5, s0
	v_cmp_gt_i32_e32 vcc, s8, v4
	v_mul_f32_e32 v2, 0x4f7ffffe, v2
	v_cvt_u32_f32_e32 v2, v2
	v_max_i32_e32 v6, s8, v4
	s_load_dwordx2 s[4:5], s[4:5], 0x10
	s_mov_b64 s[6:7], -1
	v_mul_lo_u32 v3, s1, v2
	v_addc_co_u32_e64 v0, s[0:1], v0, v5, vcc
	v_sub_u32_e32 v0, v6, v0
	v_mul_hi_u32 v3, v2, v3
	v_add_u32_e32 v2, v2, v3
	v_mul_hi_u32 v2, v0, v2
	v_mul_lo_u32 v3, v2, s2
	v_add_u32_e32 v4, 1, v2
	v_sub_u32_e32 v0, v0, v3
	v_cmp_le_u32_e64 s[0:1], s2, v0
	v_subrev_u32_e32 v3, s2, v0
	v_cndmask_b32_e64 v2, v2, v4, s[0:1]
	v_cndmask_b32_e64 v0, v0, v3, s[0:1]
	v_add_u32_e32 v3, 1, v2
	v_cmp_le_u32_e64 s[0:1], s2, v0
	v_cndmask_b32_e64 v0, v2, v3, s[0:1]
	v_addc_co_u32_e32 v0, vcc, 1, v0, vcc
	v_cmp_lt_u32_e32 vcc, 1, v0
	s_and_saveexec_b64 s[0:1], vcc
	s_cbranch_execz .LBB60_5
; %bb.2:
	v_add_u32_e32 v2, s2, v1
	v_and_b32_e32 v4, -2, v0
	s_lshl_b32 s11, s2, 1
	v_mov_b32_e32 v3, v2
	s_mov_b32 s3, s10
	s_mov_b32 s12, s11
	s_mov_b64 s[6:7], 0
	v_mov_b32_e32 v5, s9
	v_mov_b32_e32 v6, s9
	s_waitcnt lgkmcnt(0)
	v_mov_b32_e32 v7, s5
	v_mov_b32_e32 v8, v4
	;; [unrolled: 1-line block ×3, first 2 shown]
.LBB60_3:                               ; =>This Inner Loop Header: Depth=1
	v_ashrrev_i32_e32 v12, 31, v2
	v_mov_b32_e32 v11, v2
	v_cvt_f32_i32_e32 v13, v2
	v_add_u32_e32 v8, -2, v8
	v_lshlrev_b64 v[11:12], 1, v[11:12]
	v_ashrrev_i32_e32 v10, 31, v3
	v_mov_b32_e32 v9, v3
	v_cvt_f32_i32_e32 v14, v3
	v_cmp_eq_u32_e32 vcc, 0, v8
	v_lshlrev_b64 v[9:10], 1, v[9:10]
	s_or_b64 s[6:7], vcc, s[6:7]
	v_add_co_u32_e32 v11, vcc, s4, v11
	v_addc_co_u32_e32 v12, vcc, v7, v12, vcc
	v_add_u32_e32 v3, s12, v3
	v_add_u32_e32 v2, s11, v2
	v_add_co_u32_e32 v9, vcc, s4, v9
	v_fma_mixlo_f16 v13, s10, v13, v6
	v_addc_co_u32_e32 v10, vcc, v7, v10, vcc
	v_fma_mixlo_f16 v14, s3, v14, v5
	global_store_short v[11:12], v13, off
	global_store_short v[9:10], v14, off
	s_andn2_b64 exec, exec, s[6:7]
	s_cbranch_execnz .LBB60_3
; %bb.4:
	s_or_b64 exec, exec, s[6:7]
	v_mad_u64_u32 v[1:2], s[6:7], v4, s2, v[1:2]
	v_cmp_ne_u32_e32 vcc, v0, v4
	s_orn2_b64 s[6:7], vcc, exec
.LBB60_5:
	s_or_b64 exec, exec, s[0:1]
	s_and_b64 exec, exec, s[6:7]
	s_cbranch_execz .LBB60_8
; %bb.6:
	v_ashrrev_i32_e32 v2, 31, v1
	v_lshlrev_b64 v[2:3], 1, v[1:2]
	s_ashr_i32 s3, s2, 31
	s_waitcnt lgkmcnt(0)
	v_mov_b32_e32 v0, s5
	v_add_co_u32_e32 v2, vcc, s4, v2
	s_lshl_b64 s[0:1], s[2:3], 1
	v_addc_co_u32_e32 v3, vcc, v0, v3, vcc
	s_mov_b64 s[4:5], 0
	v_mov_b32_e32 v0, s9
	v_mov_b32_e32 v4, s1
.LBB60_7:                               ; =>This Inner Loop Header: Depth=1
	v_cvt_f32_i32_e32 v5, v1
	v_add_u32_e32 v1, s2, v1
	v_cmp_le_i32_e32 vcc, s8, v1
	s_or_b64 s[4:5], vcc, s[4:5]
	v_fma_mixlo_f16 v5, s10, v5, v0
	global_store_short v[2:3], v5, off
	v_add_co_u32_e32 v2, vcc, s0, v2
	v_addc_co_u32_e32 v3, vcc, v3, v4, vcc
	s_andn2_b64 exec, exec, s[4:5]
	s_cbranch_execnz .LBB60_7
.LBB60_8:
	s_endpgm
	.section	.rodata,"a",@progbits
	.p2align	6, 0x0
	.amdhsa_kernel _ZN12_GLOBAL__N_141elementwise_kernel_with_index_grid_strideIiZZZN2at6native14range_cuda_outERKN3c106ScalarES6_S6_RNS1_6TensorEENKUlvE_clEvENKUlvE6_clEvEUllE_EEvT_T0_PN15function_traitsISD_E11result_typeE
		.amdhsa_group_segment_fixed_size 0
		.amdhsa_private_segment_fixed_size 0
		.amdhsa_kernarg_size 280
		.amdhsa_user_sgpr_count 6
		.amdhsa_user_sgpr_private_segment_buffer 1
		.amdhsa_user_sgpr_dispatch_ptr 0
		.amdhsa_user_sgpr_queue_ptr 0
		.amdhsa_user_sgpr_kernarg_segment_ptr 1
		.amdhsa_user_sgpr_dispatch_id 0
		.amdhsa_user_sgpr_flat_scratch_init 0
		.amdhsa_user_sgpr_private_segment_size 0
		.amdhsa_uses_dynamic_stack 0
		.amdhsa_system_sgpr_private_segment_wavefront_offset 0
		.amdhsa_system_sgpr_workgroup_id_x 1
		.amdhsa_system_sgpr_workgroup_id_y 0
		.amdhsa_system_sgpr_workgroup_id_z 0
		.amdhsa_system_sgpr_workgroup_info 0
		.amdhsa_system_vgpr_workitem_id 0
		.amdhsa_next_free_vgpr 15
		.amdhsa_next_free_sgpr 14
		.amdhsa_reserve_vcc 1
		.amdhsa_reserve_flat_scratch 0
		.amdhsa_float_round_mode_32 0
		.amdhsa_float_round_mode_16_64 0
		.amdhsa_float_denorm_mode_32 3
		.amdhsa_float_denorm_mode_16_64 3
		.amdhsa_dx10_clamp 1
		.amdhsa_ieee_mode 1
		.amdhsa_fp16_overflow 0
		.amdhsa_exception_fp_ieee_invalid_op 0
		.amdhsa_exception_fp_denorm_src 0
		.amdhsa_exception_fp_ieee_div_zero 0
		.amdhsa_exception_fp_ieee_overflow 0
		.amdhsa_exception_fp_ieee_underflow 0
		.amdhsa_exception_fp_ieee_inexact 0
		.amdhsa_exception_int_div_zero 0
	.end_amdhsa_kernel
	.section	.text._ZN12_GLOBAL__N_141elementwise_kernel_with_index_grid_strideIiZZZN2at6native14range_cuda_outERKN3c106ScalarES6_S6_RNS1_6TensorEENKUlvE_clEvENKUlvE6_clEvEUllE_EEvT_T0_PN15function_traitsISD_E11result_typeE,"axG",@progbits,_ZN12_GLOBAL__N_141elementwise_kernel_with_index_grid_strideIiZZZN2at6native14range_cuda_outERKN3c106ScalarES6_S6_RNS1_6TensorEENKUlvE_clEvENKUlvE6_clEvEUllE_EEvT_T0_PN15function_traitsISD_E11result_typeE,comdat
.Lfunc_end60:
	.size	_ZN12_GLOBAL__N_141elementwise_kernel_with_index_grid_strideIiZZZN2at6native14range_cuda_outERKN3c106ScalarES6_S6_RNS1_6TensorEENKUlvE_clEvENKUlvE6_clEvEUllE_EEvT_T0_PN15function_traitsISD_E11result_typeE, .Lfunc_end60-_ZN12_GLOBAL__N_141elementwise_kernel_with_index_grid_strideIiZZZN2at6native14range_cuda_outERKN3c106ScalarES6_S6_RNS1_6TensorEENKUlvE_clEvENKUlvE6_clEvEUllE_EEvT_T0_PN15function_traitsISD_E11result_typeE
                                        ; -- End function
	.set _ZN12_GLOBAL__N_141elementwise_kernel_with_index_grid_strideIiZZZN2at6native14range_cuda_outERKN3c106ScalarES6_S6_RNS1_6TensorEENKUlvE_clEvENKUlvE6_clEvEUllE_EEvT_T0_PN15function_traitsISD_E11result_typeE.num_vgpr, 15
	.set _ZN12_GLOBAL__N_141elementwise_kernel_with_index_grid_strideIiZZZN2at6native14range_cuda_outERKN3c106ScalarES6_S6_RNS1_6TensorEENKUlvE_clEvENKUlvE6_clEvEUllE_EEvT_T0_PN15function_traitsISD_E11result_typeE.num_agpr, 0
	.set _ZN12_GLOBAL__N_141elementwise_kernel_with_index_grid_strideIiZZZN2at6native14range_cuda_outERKN3c106ScalarES6_S6_RNS1_6TensorEENKUlvE_clEvENKUlvE6_clEvEUllE_EEvT_T0_PN15function_traitsISD_E11result_typeE.numbered_sgpr, 14
	.set _ZN12_GLOBAL__N_141elementwise_kernel_with_index_grid_strideIiZZZN2at6native14range_cuda_outERKN3c106ScalarES6_S6_RNS1_6TensorEENKUlvE_clEvENKUlvE6_clEvEUllE_EEvT_T0_PN15function_traitsISD_E11result_typeE.num_named_barrier, 0
	.set _ZN12_GLOBAL__N_141elementwise_kernel_with_index_grid_strideIiZZZN2at6native14range_cuda_outERKN3c106ScalarES6_S6_RNS1_6TensorEENKUlvE_clEvENKUlvE6_clEvEUllE_EEvT_T0_PN15function_traitsISD_E11result_typeE.private_seg_size, 0
	.set _ZN12_GLOBAL__N_141elementwise_kernel_with_index_grid_strideIiZZZN2at6native14range_cuda_outERKN3c106ScalarES6_S6_RNS1_6TensorEENKUlvE_clEvENKUlvE6_clEvEUllE_EEvT_T0_PN15function_traitsISD_E11result_typeE.uses_vcc, 1
	.set _ZN12_GLOBAL__N_141elementwise_kernel_with_index_grid_strideIiZZZN2at6native14range_cuda_outERKN3c106ScalarES6_S6_RNS1_6TensorEENKUlvE_clEvENKUlvE6_clEvEUllE_EEvT_T0_PN15function_traitsISD_E11result_typeE.uses_flat_scratch, 0
	.set _ZN12_GLOBAL__N_141elementwise_kernel_with_index_grid_strideIiZZZN2at6native14range_cuda_outERKN3c106ScalarES6_S6_RNS1_6TensorEENKUlvE_clEvENKUlvE6_clEvEUllE_EEvT_T0_PN15function_traitsISD_E11result_typeE.has_dyn_sized_stack, 0
	.set _ZN12_GLOBAL__N_141elementwise_kernel_with_index_grid_strideIiZZZN2at6native14range_cuda_outERKN3c106ScalarES6_S6_RNS1_6TensorEENKUlvE_clEvENKUlvE6_clEvEUllE_EEvT_T0_PN15function_traitsISD_E11result_typeE.has_recursion, 0
	.set _ZN12_GLOBAL__N_141elementwise_kernel_with_index_grid_strideIiZZZN2at6native14range_cuda_outERKN3c106ScalarES6_S6_RNS1_6TensorEENKUlvE_clEvENKUlvE6_clEvEUllE_EEvT_T0_PN15function_traitsISD_E11result_typeE.has_indirect_call, 0
	.section	.AMDGPU.csdata,"",@progbits
; Kernel info:
; codeLenInByte = 552
; TotalNumSgprs: 18
; NumVgprs: 15
; ScratchSize: 0
; MemoryBound: 0
; FloatMode: 240
; IeeeMode: 1
; LDSByteSize: 0 bytes/workgroup (compile time only)
; SGPRBlocks: 2
; VGPRBlocks: 3
; NumSGPRsForWavesPerEU: 18
; NumVGPRsForWavesPerEU: 15
; Occupancy: 10
; WaveLimiterHint : 0
; COMPUTE_PGM_RSRC2:SCRATCH_EN: 0
; COMPUTE_PGM_RSRC2:USER_SGPR: 6
; COMPUTE_PGM_RSRC2:TRAP_HANDLER: 0
; COMPUTE_PGM_RSRC2:TGID_X_EN: 1
; COMPUTE_PGM_RSRC2:TGID_Y_EN: 0
; COMPUTE_PGM_RSRC2:TGID_Z_EN: 0
; COMPUTE_PGM_RSRC2:TIDIG_COMP_CNT: 0
	.section	.text._ZN12_GLOBAL__N_141elementwise_kernel_with_index_grid_strideIlZZZN2at6native14range_cuda_outERKN3c106ScalarES6_S6_RNS1_6TensorEENKUlvE_clEvENKUlvE6_clEvEUllE_EEvT_T0_PN15function_traitsISD_E11result_typeE,"axG",@progbits,_ZN12_GLOBAL__N_141elementwise_kernel_with_index_grid_strideIlZZZN2at6native14range_cuda_outERKN3c106ScalarES6_S6_RNS1_6TensorEENKUlvE_clEvENKUlvE6_clEvEUllE_EEvT_T0_PN15function_traitsISD_E11result_typeE,comdat
	.globl	_ZN12_GLOBAL__N_141elementwise_kernel_with_index_grid_strideIlZZZN2at6native14range_cuda_outERKN3c106ScalarES6_S6_RNS1_6TensorEENKUlvE_clEvENKUlvE6_clEvEUllE_EEvT_T0_PN15function_traitsISD_E11result_typeE ; -- Begin function _ZN12_GLOBAL__N_141elementwise_kernel_with_index_grid_strideIlZZZN2at6native14range_cuda_outERKN3c106ScalarES6_S6_RNS1_6TensorEENKUlvE_clEvENKUlvE6_clEvEUllE_EEvT_T0_PN15function_traitsISD_E11result_typeE
	.p2align	8
	.type	_ZN12_GLOBAL__N_141elementwise_kernel_with_index_grid_strideIlZZZN2at6native14range_cuda_outERKN3c106ScalarES6_S6_RNS1_6TensorEENKUlvE_clEvENKUlvE6_clEvEUllE_EEvT_T0_PN15function_traitsISD_E11result_typeE,@function
_ZN12_GLOBAL__N_141elementwise_kernel_with_index_grid_strideIlZZZN2at6native14range_cuda_outERKN3c106ScalarES6_S6_RNS1_6TensorEENKUlvE_clEvENKUlvE6_clEvEUllE_EEvT_T0_PN15function_traitsISD_E11result_typeE: ; @_ZN12_GLOBAL__N_141elementwise_kernel_with_index_grid_strideIlZZZN2at6native14range_cuda_outERKN3c106ScalarES6_S6_RNS1_6TensorEENKUlvE_clEvENKUlvE6_clEvEUllE_EEvT_T0_PN15function_traitsISD_E11result_typeE
; %bb.0:
	s_load_dword s2, s[4:5], 0x24
	s_load_dwordx2 s[8:9], s[4:5], 0x0
	s_add_u32 s0, s4, 24
	s_addc_u32 s1, s5, 0
	v_mov_b32_e32 v1, 0
	s_waitcnt lgkmcnt(0)
	s_and_b32 s2, s2, 0xffff
	v_mov_b32_e32 v2, s6
	v_mad_u64_u32 v[2:3], s[10:11], s2, v2, v[0:1]
	v_cmp_gt_i64_e32 vcc, s[8:9], v[2:3]
	s_and_saveexec_b64 s[10:11], vcc
	s_cbranch_execz .LBB61_14
; %bb.1:
	s_load_dword s3, s[0:1], 0x0
	s_load_dwordx2 s[10:11], s[4:5], 0x8
	v_mov_b32_e32 v4, s2
	v_mov_b32_e32 v7, s9
	s_waitcnt lgkmcnt(0)
	s_add_u32 s0, s6, s3
	v_mad_u64_u32 v[5:6], s[0:1], s0, v4, v[0:1]
	s_addc_u32 s0, 0, 0
	s_mul_i32 s0, s0, s2
	v_add_u32_e32 v6, s0, v6
	v_cmp_gt_i64_e32 vcc, s[8:9], v[5:6]
	v_mov_b32_e32 v4, s8
	v_cndmask_b32_e32 v0, v6, v7, vcc
	v_cndmask_b32_e32 v7, v5, v4, vcc
	v_cndmask_b32_e64 v4, 0, 1, vcc
	v_add_co_u32_e32 v5, vcc, v5, v4
	v_addc_co_u32_e32 v6, vcc, 0, v6, vcc
	v_sub_co_u32_e32 v5, vcc, v7, v5
	s_mul_hi_u32 s7, s2, s3
	v_subb_co_u32_e32 v6, vcc, v0, v6, vcc
	v_or_b32_e32 v8, s7, v6
	v_mov_b32_e32 v7, v1
	v_cmp_ne_u64_e32 vcc, 0, v[7:8]
	s_mul_i32 s6, s2, s3
                                        ; implicit-def: $vgpr0_vgpr1
	s_and_saveexec_b64 s[0:1], vcc
	s_xor_b64 s[2:3], exec, s[0:1]
	s_cbranch_execz .LBB61_3
; %bb.2:
	v_cvt_f32_u32_e32 v0, s6
	v_cvt_f32_u32_e32 v1, s7
	s_sub_u32 s12, 0, s6
	s_subb_u32 s13, 0, s7
	v_madmk_f32 v0, v1, 0x4f800000, v0
	v_rcp_f32_e32 v0, v0
	v_mul_f32_e32 v0, 0x5f7ffffc, v0
	v_mul_f32_e32 v1, 0x2f800000, v0
	v_trunc_f32_e32 v1, v1
	v_madmk_f32 v0, v1, 0xcf800000, v0
	v_cvt_u32_f32_e32 v1, v1
	v_cvt_u32_f32_e32 v0, v0
	v_readfirstlane_b32 s14, v1
	v_readfirstlane_b32 s0, v0
	s_mul_i32 s1, s12, s14
	s_mul_hi_u32 s16, s12, s0
	s_mul_i32 s15, s13, s0
	s_add_i32 s1, s16, s1
	s_mul_i32 s17, s12, s0
	s_add_i32 s1, s1, s15
	s_mul_i32 s16, s0, s1
	s_mul_hi_u32 s18, s0, s17
	s_mul_hi_u32 s15, s0, s1
	s_add_u32 s16, s18, s16
	s_addc_u32 s15, 0, s15
	s_mul_hi_u32 s19, s14, s17
	s_mul_i32 s17, s14, s17
	s_add_u32 s16, s16, s17
	s_mul_hi_u32 s18, s14, s1
	s_addc_u32 s15, s15, s19
	s_addc_u32 s16, s18, 0
	s_mul_i32 s1, s14, s1
	s_add_u32 s1, s15, s1
	s_addc_u32 s15, 0, s16
	s_add_u32 s16, s0, s1
	s_cselect_b64 s[0:1], -1, 0
	s_cmp_lg_u64 s[0:1], 0
	s_addc_u32 s14, s14, s15
	s_mul_i32 s0, s12, s14
	s_mul_hi_u32 s1, s12, s16
	s_add_i32 s0, s1, s0
	s_mul_i32 s13, s13, s16
	s_add_i32 s0, s0, s13
	s_mul_i32 s12, s12, s16
	s_mul_hi_u32 s13, s14, s12
	s_mul_i32 s15, s14, s12
	s_mul_i32 s18, s16, s0
	s_mul_hi_u32 s12, s16, s12
	s_mul_hi_u32 s17, s16, s0
	s_add_u32 s12, s12, s18
	s_addc_u32 s17, 0, s17
	s_add_u32 s12, s12, s15
	s_mul_hi_u32 s1, s14, s0
	s_addc_u32 s12, s17, s13
	s_addc_u32 s1, s1, 0
	s_mul_i32 s0, s14, s0
	s_add_u32 s0, s12, s0
	s_addc_u32 s12, 0, s1
	s_add_u32 s13, s16, s0
	s_cselect_b64 s[0:1], -1, 0
	s_cmp_lg_u64 s[0:1], 0
	s_addc_u32 s12, s14, s12
	v_mad_u64_u32 v[0:1], s[0:1], v5, s12, 0
	v_mul_hi_u32 v7, v5, s13
	v_add_co_u32_e32 v9, vcc, v7, v0
	v_addc_co_u32_e32 v10, vcc, 0, v1, vcc
	v_mad_u64_u32 v[0:1], s[0:1], v6, s13, 0
	v_mad_u64_u32 v[7:8], s[0:1], v6, s12, 0
	v_add_co_u32_e32 v0, vcc, v9, v0
	v_addc_co_u32_e32 v0, vcc, v10, v1, vcc
	v_addc_co_u32_e32 v1, vcc, 0, v8, vcc
	v_add_co_u32_e32 v7, vcc, v0, v7
	v_addc_co_u32_e32 v8, vcc, 0, v1, vcc
	v_mul_lo_u32 v9, s7, v7
	v_mul_lo_u32 v10, s6, v8
	v_mad_u64_u32 v[0:1], s[0:1], s6, v7, 0
	v_add3_u32 v1, v1, v10, v9
	v_sub_u32_e32 v9, v6, v1
	v_mov_b32_e32 v10, s7
	v_sub_co_u32_e32 v0, vcc, v5, v0
	v_subb_co_u32_e64 v5, s[0:1], v9, v10, vcc
	v_subrev_co_u32_e64 v9, s[0:1], s6, v0
	v_subbrev_co_u32_e64 v5, s[0:1], 0, v5, s[0:1]
	v_cmp_le_u32_e64 s[0:1], s7, v5
	v_cndmask_b32_e64 v10, 0, -1, s[0:1]
	v_cmp_le_u32_e64 s[0:1], s6, v9
	v_cndmask_b32_e64 v9, 0, -1, s[0:1]
	v_cmp_eq_u32_e64 s[0:1], s7, v5
	v_cndmask_b32_e64 v5, v10, v9, s[0:1]
	v_add_co_u32_e64 v9, s[0:1], 2, v7
	v_subb_co_u32_e32 v1, vcc, v6, v1, vcc
	v_addc_co_u32_e64 v10, s[0:1], 0, v8, s[0:1]
	v_cmp_le_u32_e32 vcc, s7, v1
	v_add_co_u32_e64 v11, s[0:1], 1, v7
	v_cndmask_b32_e64 v6, 0, -1, vcc
	v_cmp_le_u32_e32 vcc, s6, v0
	v_addc_co_u32_e64 v12, s[0:1], 0, v8, s[0:1]
	v_cndmask_b32_e64 v0, 0, -1, vcc
	v_cmp_eq_u32_e32 vcc, s7, v1
	v_cmp_ne_u32_e64 s[0:1], 0, v5
	v_cndmask_b32_e32 v0, v6, v0, vcc
	v_cndmask_b32_e64 v5, v12, v10, s[0:1]
	v_cmp_ne_u32_e32 vcc, 0, v0
	v_cndmask_b32_e64 v0, v11, v9, s[0:1]
	v_cndmask_b32_e32 v1, v8, v5, vcc
	v_cndmask_b32_e32 v0, v7, v0, vcc
                                        ; implicit-def: $vgpr5
.LBB61_3:
	s_andn2_saveexec_b64 s[0:1], s[2:3]
	s_cbranch_execz .LBB61_5
; %bb.4:
	v_cvt_f32_u32_e32 v0, s6
	s_sub_i32 s2, 0, s6
	v_rcp_iflag_f32_e32 v0, v0
	v_mul_f32_e32 v0, 0x4f7ffffe, v0
	v_cvt_u32_f32_e32 v0, v0
	v_mul_lo_u32 v1, s2, v0
	v_mul_hi_u32 v1, v0, v1
	v_add_u32_e32 v0, v0, v1
	v_mul_hi_u32 v0, v5, v0
	v_mul_lo_u32 v1, v0, s6
	v_add_u32_e32 v6, 1, v0
	v_sub_u32_e32 v1, v5, v1
	v_subrev_u32_e32 v5, s6, v1
	v_cmp_le_u32_e32 vcc, s6, v1
	v_cndmask_b32_e32 v1, v1, v5, vcc
	v_cndmask_b32_e32 v0, v0, v6, vcc
	v_add_u32_e32 v5, 1, v0
	v_cmp_le_u32_e32 vcc, s6, v1
	v_cndmask_b32_e32 v0, v0, v5, vcc
	v_mov_b32_e32 v1, 0
.LBB61_5:
	s_or_b64 exec, exec, s[0:1]
	v_add_co_u32_e32 v0, vcc, v0, v4
	s_load_dwordx2 s[4:5], s[4:5], 0x10
	v_addc_co_u32_e32 v1, vcc, 0, v1, vcc
	v_add_co_u32_e32 v0, vcc, 1, v0
	v_addc_co_u32_e32 v1, vcc, 0, v1, vcc
	v_cmp_lt_u64_e32 vcc, 1, v[0:1]
	s_mov_b64 s[0:1], 0
                                        ; implicit-def: $vgpr4_vgpr5
	s_and_saveexec_b64 s[2:3], vcc
	s_xor_b64 s[12:13], exec, s[2:3]
	s_cbranch_execnz .LBB61_8
; %bb.6:
	s_andn2_saveexec_b64 s[2:3], s[12:13]
	s_cbranch_execnz .LBB61_11
.LBB61_7:
	s_or_b64 exec, exec, s[2:3]
	s_and_b64 exec, exec, s[0:1]
	s_cbranch_execnz .LBB61_12
	s_branch .LBB61_14
.LBB61_8:
	v_mov_b32_e32 v5, s7
	v_add_co_u32_e32 v4, vcc, s6, v2
	v_lshlrev_b64 v[6:7], 1, v[2:3]
	v_addc_co_u32_e32 v5, vcc, v3, v5, vcc
	v_mov_b32_e32 v9, v1
	s_waitcnt lgkmcnt(0)
	v_mov_b32_e32 v11, s5
	v_add_co_u32_e32 v10, vcc, s4, v6
	v_and_b32_e32 v8, -2, v0
	s_lshl_b64 s[14:15], s[6:7], 1
	v_addc_co_u32_e32 v11, vcc, v11, v7, vcc
	s_lshl_b64 s[18:19], s[6:7], 2
	v_mov_b32_e32 v13, v9
	v_mov_b32_e32 v7, v5
	s_mov_b32 s20, s11
	s_mov_b32 s21, s11
	;; [unrolled: 1-line block ×3, first 2 shown]
	s_mov_b64 s[16:17], 0
	v_mov_b32_e32 v14, s10
	v_mov_b32_e32 v15, s10
	;; [unrolled: 1-line block ×10, first 2 shown]
.LBB61_9:                               ; =>This Inner Loop Header: Depth=1
	v_ffbh_u32_e32 v20, v5
	v_min_u32_e32 v22, 32, v20
	v_lshlrev_b64 v[20:21], v22, v[4:5]
	v_add_co_u32_e64 v4, s[2:3], s14, v4
	v_min_u32_e32 v20, 1, v20
	v_or_b32_e32 v23, v21, v20
	v_ffbh_u32_e32 v20, v7
	v_min_u32_e32 v24, 32, v20
	v_lshlrev_b64 v[20:21], v24, v[6:7]
	v_add_co_u32_e64 v6, s[0:1], s22, v6
	v_min_u32_e32 v20, 1, v20
	v_or_b32_e32 v20, v21, v20
	v_sub_u32_e32 v21, 32, v22
	v_cvt_f32_u32_e32 v22, v23
	v_cvt_f32_u32_e32 v20, v20
	v_addc_co_u32_e64 v7, s[0:1], v7, v17, s[0:1]
	v_ldexp_f32 v21, v22, v21
	v_sub_u32_e32 v22, 32, v24
	v_ldexp_f32 v22, v20, v22
	v_fma_mixlo_f16 v20, s20, v21, v15
	global_store_short v[10:11], v20, off
	v_add_co_u32_e32 v20, vcc, s14, v10
	v_addc_co_u32_e32 v21, vcc, v11, v16, vcc
	v_add_co_u32_e32 v12, vcc, -2, v12
	v_addc_co_u32_e32 v13, vcc, -1, v13, vcc
	v_cmp_eq_u64_e32 vcc, 0, v[12:13]
	v_fma_mixlo_f16 v22, s21, v22, v14
	s_or_b64 s[16:17], vcc, s[16:17]
	v_add_co_u32_e32 v10, vcc, s18, v10
	v_addc_co_u32_e64 v5, s[0:1], v5, v18, s[2:3]
	v_addc_co_u32_e32 v11, vcc, v11, v19, vcc
	global_store_short v[20:21], v22, off
	s_andn2_b64 exec, exec, s[16:17]
	s_cbranch_execnz .LBB61_9
; %bb.10:
	s_or_b64 exec, exec, s[16:17]
	v_mad_u64_u32 v[2:3], s[0:1], v8, s6, v[2:3]
	v_mul_lo_u32 v4, v8, s7
	v_mul_lo_u32 v5, v9, s6
	v_cmp_ne_u64_e32 vcc, v[0:1], v[8:9]
	s_and_b64 s[0:1], vcc, exec
	v_add3_u32 v3, v5, v3, v4
	v_mov_b32_e32 v4, s14
	v_mov_b32_e32 v5, s15
	s_andn2_saveexec_b64 s[2:3], s[12:13]
	s_cbranch_execz .LBB61_7
.LBB61_11:
	s_lshl_b64 s[12:13], s[6:7], 1
	v_mov_b32_e32 v4, s12
	v_mov_b32_e32 v5, s13
	s_or_b64 s[0:1], s[0:1], exec
	s_or_b64 exec, exec, s[2:3]
	s_and_b64 exec, exec, s[0:1]
	s_cbranch_execz .LBB61_14
.LBB61_12:
	v_lshlrev_b64 v[0:1], 1, v[2:3]
	s_waitcnt lgkmcnt(0)
	v_mov_b32_e32 v6, s5
	v_add_co_u32_e32 v0, vcc, s4, v0
	v_addc_co_u32_e32 v1, vcc, v6, v1, vcc
	s_mov_b64 s[0:1], 0
	v_mov_b32_e32 v6, s10
	v_mov_b32_e32 v7, s7
.LBB61_13:                              ; =>This Inner Loop Header: Depth=1
	v_ffbh_u32_e32 v8, v3
	v_min_u32_e32 v10, 32, v8
	v_lshlrev_b64 v[8:9], v10, v[2:3]
	v_add_co_u32_e32 v2, vcc, s6, v2
	v_min_u32_e32 v8, 1, v8
	v_or_b32_e32 v8, v9, v8
	v_cvt_f32_u32_e32 v8, v8
	v_sub_u32_e32 v10, 32, v10
	v_addc_co_u32_e32 v3, vcc, v3, v7, vcc
	v_cmp_le_i64_e32 vcc, s[8:9], v[2:3]
	v_ldexp_f32 v8, v8, v10
	v_fma_mixlo_f16 v8, s11, v8, v6
	s_or_b64 s[0:1], vcc, s[0:1]
	global_store_short v[0:1], v8, off
	v_add_co_u32_e32 v0, vcc, v0, v4
	v_addc_co_u32_e32 v1, vcc, v1, v5, vcc
	s_andn2_b64 exec, exec, s[0:1]
	s_cbranch_execnz .LBB61_13
.LBB61_14:
	s_endpgm
	.section	.rodata,"a",@progbits
	.p2align	6, 0x0
	.amdhsa_kernel _ZN12_GLOBAL__N_141elementwise_kernel_with_index_grid_strideIlZZZN2at6native14range_cuda_outERKN3c106ScalarES6_S6_RNS1_6TensorEENKUlvE_clEvENKUlvE6_clEvEUllE_EEvT_T0_PN15function_traitsISD_E11result_typeE
		.amdhsa_group_segment_fixed_size 0
		.amdhsa_private_segment_fixed_size 0
		.amdhsa_kernarg_size 280
		.amdhsa_user_sgpr_count 6
		.amdhsa_user_sgpr_private_segment_buffer 1
		.amdhsa_user_sgpr_dispatch_ptr 0
		.amdhsa_user_sgpr_queue_ptr 0
		.amdhsa_user_sgpr_kernarg_segment_ptr 1
		.amdhsa_user_sgpr_dispatch_id 0
		.amdhsa_user_sgpr_flat_scratch_init 0
		.amdhsa_user_sgpr_private_segment_size 0
		.amdhsa_uses_dynamic_stack 0
		.amdhsa_system_sgpr_private_segment_wavefront_offset 0
		.amdhsa_system_sgpr_workgroup_id_x 1
		.amdhsa_system_sgpr_workgroup_id_y 0
		.amdhsa_system_sgpr_workgroup_id_z 0
		.amdhsa_system_sgpr_workgroup_info 0
		.amdhsa_system_vgpr_workitem_id 0
		.amdhsa_next_free_vgpr 25
		.amdhsa_next_free_sgpr 23
		.amdhsa_reserve_vcc 1
		.amdhsa_reserve_flat_scratch 0
		.amdhsa_float_round_mode_32 0
		.amdhsa_float_round_mode_16_64 0
		.amdhsa_float_denorm_mode_32 3
		.amdhsa_float_denorm_mode_16_64 3
		.amdhsa_dx10_clamp 1
		.amdhsa_ieee_mode 1
		.amdhsa_fp16_overflow 0
		.amdhsa_exception_fp_ieee_invalid_op 0
		.amdhsa_exception_fp_denorm_src 0
		.amdhsa_exception_fp_ieee_div_zero 0
		.amdhsa_exception_fp_ieee_overflow 0
		.amdhsa_exception_fp_ieee_underflow 0
		.amdhsa_exception_fp_ieee_inexact 0
		.amdhsa_exception_int_div_zero 0
	.end_amdhsa_kernel
	.section	.text._ZN12_GLOBAL__N_141elementwise_kernel_with_index_grid_strideIlZZZN2at6native14range_cuda_outERKN3c106ScalarES6_S6_RNS1_6TensorEENKUlvE_clEvENKUlvE6_clEvEUllE_EEvT_T0_PN15function_traitsISD_E11result_typeE,"axG",@progbits,_ZN12_GLOBAL__N_141elementwise_kernel_with_index_grid_strideIlZZZN2at6native14range_cuda_outERKN3c106ScalarES6_S6_RNS1_6TensorEENKUlvE_clEvENKUlvE6_clEvEUllE_EEvT_T0_PN15function_traitsISD_E11result_typeE,comdat
.Lfunc_end61:
	.size	_ZN12_GLOBAL__N_141elementwise_kernel_with_index_grid_strideIlZZZN2at6native14range_cuda_outERKN3c106ScalarES6_S6_RNS1_6TensorEENKUlvE_clEvENKUlvE6_clEvEUllE_EEvT_T0_PN15function_traitsISD_E11result_typeE, .Lfunc_end61-_ZN12_GLOBAL__N_141elementwise_kernel_with_index_grid_strideIlZZZN2at6native14range_cuda_outERKN3c106ScalarES6_S6_RNS1_6TensorEENKUlvE_clEvENKUlvE6_clEvEUllE_EEvT_T0_PN15function_traitsISD_E11result_typeE
                                        ; -- End function
	.set _ZN12_GLOBAL__N_141elementwise_kernel_with_index_grid_strideIlZZZN2at6native14range_cuda_outERKN3c106ScalarES6_S6_RNS1_6TensorEENKUlvE_clEvENKUlvE6_clEvEUllE_EEvT_T0_PN15function_traitsISD_E11result_typeE.num_vgpr, 25
	.set _ZN12_GLOBAL__N_141elementwise_kernel_with_index_grid_strideIlZZZN2at6native14range_cuda_outERKN3c106ScalarES6_S6_RNS1_6TensorEENKUlvE_clEvENKUlvE6_clEvEUllE_EEvT_T0_PN15function_traitsISD_E11result_typeE.num_agpr, 0
	.set _ZN12_GLOBAL__N_141elementwise_kernel_with_index_grid_strideIlZZZN2at6native14range_cuda_outERKN3c106ScalarES6_S6_RNS1_6TensorEENKUlvE_clEvENKUlvE6_clEvEUllE_EEvT_T0_PN15function_traitsISD_E11result_typeE.numbered_sgpr, 23
	.set _ZN12_GLOBAL__N_141elementwise_kernel_with_index_grid_strideIlZZZN2at6native14range_cuda_outERKN3c106ScalarES6_S6_RNS1_6TensorEENKUlvE_clEvENKUlvE6_clEvEUllE_EEvT_T0_PN15function_traitsISD_E11result_typeE.num_named_barrier, 0
	.set _ZN12_GLOBAL__N_141elementwise_kernel_with_index_grid_strideIlZZZN2at6native14range_cuda_outERKN3c106ScalarES6_S6_RNS1_6TensorEENKUlvE_clEvENKUlvE6_clEvEUllE_EEvT_T0_PN15function_traitsISD_E11result_typeE.private_seg_size, 0
	.set _ZN12_GLOBAL__N_141elementwise_kernel_with_index_grid_strideIlZZZN2at6native14range_cuda_outERKN3c106ScalarES6_S6_RNS1_6TensorEENKUlvE_clEvENKUlvE6_clEvEUllE_EEvT_T0_PN15function_traitsISD_E11result_typeE.uses_vcc, 1
	.set _ZN12_GLOBAL__N_141elementwise_kernel_with_index_grid_strideIlZZZN2at6native14range_cuda_outERKN3c106ScalarES6_S6_RNS1_6TensorEENKUlvE_clEvENKUlvE6_clEvEUllE_EEvT_T0_PN15function_traitsISD_E11result_typeE.uses_flat_scratch, 0
	.set _ZN12_GLOBAL__N_141elementwise_kernel_with_index_grid_strideIlZZZN2at6native14range_cuda_outERKN3c106ScalarES6_S6_RNS1_6TensorEENKUlvE_clEvENKUlvE6_clEvEUllE_EEvT_T0_PN15function_traitsISD_E11result_typeE.has_dyn_sized_stack, 0
	.set _ZN12_GLOBAL__N_141elementwise_kernel_with_index_grid_strideIlZZZN2at6native14range_cuda_outERKN3c106ScalarES6_S6_RNS1_6TensorEENKUlvE_clEvENKUlvE6_clEvEUllE_EEvT_T0_PN15function_traitsISD_E11result_typeE.has_recursion, 0
	.set _ZN12_GLOBAL__N_141elementwise_kernel_with_index_grid_strideIlZZZN2at6native14range_cuda_outERKN3c106ScalarES6_S6_RNS1_6TensorEENKUlvE_clEvENKUlvE6_clEvEUllE_EEvT_T0_PN15function_traitsISD_E11result_typeE.has_indirect_call, 0
	.section	.AMDGPU.csdata,"",@progbits
; Kernel info:
; codeLenInByte = 1436
; TotalNumSgprs: 27
; NumVgprs: 25
; ScratchSize: 0
; MemoryBound: 0
; FloatMode: 240
; IeeeMode: 1
; LDSByteSize: 0 bytes/workgroup (compile time only)
; SGPRBlocks: 3
; VGPRBlocks: 6
; NumSGPRsForWavesPerEU: 27
; NumVGPRsForWavesPerEU: 25
; Occupancy: 9
; WaveLimiterHint : 0
; COMPUTE_PGM_RSRC2:SCRATCH_EN: 0
; COMPUTE_PGM_RSRC2:USER_SGPR: 6
; COMPUTE_PGM_RSRC2:TRAP_HANDLER: 0
; COMPUTE_PGM_RSRC2:TGID_X_EN: 1
; COMPUTE_PGM_RSRC2:TGID_Y_EN: 0
; COMPUTE_PGM_RSRC2:TGID_Z_EN: 0
; COMPUTE_PGM_RSRC2:TIDIG_COMP_CNT: 0
	.section	.text._ZN12_GLOBAL__N_141elementwise_kernel_with_index_grid_strideIiZZZN2at6native15arange_cuda_outERKN3c106ScalarES6_S6_RNS1_6TensorEENKUlvE_clEvENKUlvE_clEvEUllE_EEvT_T0_PN15function_traitsISD_E11result_typeE,"axG",@progbits,_ZN12_GLOBAL__N_141elementwise_kernel_with_index_grid_strideIiZZZN2at6native15arange_cuda_outERKN3c106ScalarES6_S6_RNS1_6TensorEENKUlvE_clEvENKUlvE_clEvEUllE_EEvT_T0_PN15function_traitsISD_E11result_typeE,comdat
	.globl	_ZN12_GLOBAL__N_141elementwise_kernel_with_index_grid_strideIiZZZN2at6native15arange_cuda_outERKN3c106ScalarES6_S6_RNS1_6TensorEENKUlvE_clEvENKUlvE_clEvEUllE_EEvT_T0_PN15function_traitsISD_E11result_typeE ; -- Begin function _ZN12_GLOBAL__N_141elementwise_kernel_with_index_grid_strideIiZZZN2at6native15arange_cuda_outERKN3c106ScalarES6_S6_RNS1_6TensorEENKUlvE_clEvENKUlvE_clEvEUllE_EEvT_T0_PN15function_traitsISD_E11result_typeE
	.p2align	8
	.type	_ZN12_GLOBAL__N_141elementwise_kernel_with_index_grid_strideIiZZZN2at6native15arange_cuda_outERKN3c106ScalarES6_S6_RNS1_6TensorEENKUlvE_clEvENKUlvE_clEvEUllE_EEvT_T0_PN15function_traitsISD_E11result_typeE,@function
_ZN12_GLOBAL__N_141elementwise_kernel_with_index_grid_strideIiZZZN2at6native15arange_cuda_outERKN3c106ScalarES6_S6_RNS1_6TensorEENKUlvE_clEvENKUlvE_clEvEUllE_EEvT_T0_PN15function_traitsISD_E11result_typeE: ; @_ZN12_GLOBAL__N_141elementwise_kernel_with_index_grid_strideIiZZZN2at6native15arange_cuda_outERKN3c106ScalarES6_S6_RNS1_6TensorEENKUlvE_clEvENKUlvE_clEvEUllE_EEvT_T0_PN15function_traitsISD_E11result_typeE
; %bb.0:
	s_load_dword s2, s[4:5], 0x2c
	s_load_dword s7, s[4:5], 0x0
	s_add_u32 s0, s4, 32
	s_addc_u32 s1, s5, 0
	s_waitcnt lgkmcnt(0)
	s_and_b32 s2, s2, 0xffff
	s_mul_i32 s3, s6, s2
	v_add_u32_e32 v1, s3, v0
	v_cmp_gt_i32_e32 vcc, s7, v1
	s_and_saveexec_b64 s[8:9], vcc
	s_cbranch_execz .LBB62_8
; %bb.1:
	s_load_dword s0, s[0:1], 0x0
	s_waitcnt lgkmcnt(0)
	s_mul_i32 s12, s0, s2
	v_cvt_f32_u32_e32 v2, s12
	s_sub_i32 s1, 0, s12
	s_add_i32 s0, s6, s0
	s_mul_i32 s0, s0, s2
	v_rcp_iflag_f32_e32 v2, v2
	v_add_u32_e32 v4, s0, v0
	v_mov_b32_e32 v5, s0
	v_cmp_gt_i32_e32 vcc, s7, v4
	v_mul_f32_e32 v2, 0x4f7ffffe, v2
	v_cvt_u32_f32_e32 v2, v2
	v_max_i32_e32 v6, s7, v4
	s_load_dwordx4 s[8:11], s[4:5], 0x8
	s_load_dwordx2 s[2:3], s[4:5], 0x18
	s_mov_b64 s[4:5], -1
	v_mul_lo_u32 v3, s1, v2
	v_addc_co_u32_e64 v0, s[0:1], v0, v5, vcc
	v_sub_u32_e32 v0, v6, v0
	v_mul_hi_u32 v3, v2, v3
	v_add_u32_e32 v2, v2, v3
	v_mul_hi_u32 v2, v0, v2
	v_mul_lo_u32 v3, v2, s12
	v_add_u32_e32 v4, 1, v2
	v_sub_u32_e32 v0, v0, v3
	v_cmp_le_u32_e64 s[0:1], s12, v0
	v_subrev_u32_e32 v3, s12, v0
	v_cndmask_b32_e64 v2, v2, v4, s[0:1]
	v_cndmask_b32_e64 v0, v0, v3, s[0:1]
	v_add_u32_e32 v3, 1, v2
	v_cmp_le_u32_e64 s[0:1], s12, v0
	v_cndmask_b32_e64 v0, v2, v3, s[0:1]
	v_addc_co_u32_e32 v0, vcc, 1, v0, vcc
	v_cmp_lt_u32_e32 vcc, 3, v0
	s_and_saveexec_b64 s[0:1], vcc
	s_cbranch_execz .LBB62_5
; %bb.2:
	v_add_u32_e32 v2, s12, v1
	v_mad_u64_u32 v[4:5], s[4:5], s12, 3, v[1:2]
	v_lshl_add_u32 v3, s12, 1, v1
	v_and_b32_e32 v14, -4, v0
	s_lshl_b32 s16, s12, 2
	v_mov_b32_e32 v5, v4
	s_waitcnt lgkmcnt(0)
	s_mov_b32 s6, s10
	s_mov_b32 s13, s10
	s_mov_b32 s14, s10
	s_mov_b32 s15, s10
	s_mov_b32 s17, s16
	s_mov_b32 s18, s16
	s_mov_b32 s19, s16
	s_mov_b64 s[4:5], 0
	v_mov_b32_e32 v6, s8
	v_mov_b32_e32 v7, s9
	v_mov_b32_e32 v8, s8
	v_mov_b32_e32 v9, s9
	v_mov_b32_e32 v10, s8
	v_mov_b32_e32 v11, s9
	v_mov_b32_e32 v12, s8
	v_mov_b32_e32 v13, s9
	v_mov_b32_e32 v15, s3
	v_mov_b32_e32 v16, v14
	v_mov_b32_e32 v4, v3
	v_mov_b32_e32 v3, v2
	v_mov_b32_e32 v2, v1
.LBB62_3:                               ; =>This Inner Loop Header: Depth=1
	v_mad_u64_u32 v[17:18], s[20:21], s13, v3, v[8:9]
	v_mad_u64_u32 v[18:19], s[20:21], s6, v2, v[6:7]
	v_lshlrev_b16_e32 v17, 8, v17
	v_ashrrev_i32_e32 v21, 31, v2
	v_or_b32_sdwa v22, v18, v17 dst_sel:DWORD dst_unused:UNUSED_PAD src0_sel:BYTE_0 src1_sel:DWORD
	v_add_co_u32_e32 v17, vcc, s2, v2
	v_addc_co_u32_e32 v18, vcc, v15, v21, vcc
	v_and_b32_e32 v22, 0xffff, v22
	v_ashrrev_i32_e32 v19, 31, v3
	v_mov_b32_e32 v21, s3
	global_store_byte v[17:18], v22, off
	v_add_co_u32_e32 v17, vcc, s2, v3
	v_addc_co_u32_e32 v18, vcc, v21, v19, vcc
	v_lshrrev_b32_e32 v22, 8, v22
	v_ashrrev_i32_e32 v19, 31, v4
	global_store_byte v[17:18], v22, off
	v_add_co_u32_e32 v17, vcc, s2, v4
	v_addc_co_u32_e32 v18, vcc, v21, v19, vcc
	v_ashrrev_i32_e32 v20, 31, v5
	v_add_co_u32_e32 v19, vcc, s2, v5
	v_addc_co_u32_e32 v20, vcc, v21, v20, vcc
	v_mad_u64_u32 v[21:22], s[20:21], s15, v5, v[12:13]
	v_add_u32_e32 v16, -4, v16
	v_cmp_eq_u32_e32 vcc, 0, v16
	v_lshlrev_b16_e32 v23, 8, v21
	v_mad_u64_u32 v[21:22], s[20:21], s14, v4, v[10:11]
	v_add_u32_e32 v5, s19, v5
	v_add_u32_e32 v4, s18, v4
	v_or_b32_sdwa v21, v21, v23 dst_sel:DWORD dst_unused:UNUSED_PAD src0_sel:BYTE_0 src1_sel:DWORD
	v_add_u32_e32 v3, s17, v3
	v_add_u32_e32 v2, s16, v2
	s_or_b64 s[4:5], vcc, s[4:5]
	v_lshrrev_b32_e32 v22, 8, v21
	global_store_byte v[17:18], v21, off
	global_store_byte v[19:20], v22, off
	s_andn2_b64 exec, exec, s[4:5]
	s_cbranch_execnz .LBB62_3
; %bb.4:
	s_or_b64 exec, exec, s[4:5]
	v_mad_u64_u32 v[1:2], s[4:5], v14, s12, v[1:2]
	v_cmp_ne_u32_e32 vcc, v0, v14
	s_orn2_b64 s[4:5], vcc, exec
.LBB62_5:
	s_or_b64 exec, exec, s[0:1]
	s_and_b64 exec, exec, s[4:5]
	s_cbranch_execz .LBB62_8
; %bb.6:
	s_waitcnt lgkmcnt(0)
	v_mov_b32_e32 v2, s8
	v_mov_b32_e32 v3, s9
	v_ashrrev_i32_e32 v0, 31, v1
	v_mad_u64_u32 v[2:3], s[0:1], s10, v1, v[2:3]
	v_mul_lo_u32 v4, s11, v1
	v_mul_lo_u32 v5, s10, v0
	s_ashr_i32 s0, s12, 31
	s_mul_hi_u32 s1, s10, s12
	s_mul_i32 s4, s10, s0
	s_add_i32 s1, s1, s4
	s_mul_i32 s4, s11, s12
	s_add_i32 s1, s1, s4
	v_add3_u32 v3, v4, v3, v5
	s_mul_i32 s6, s10, s12
	s_mov_b64 s[4:5], 0
	v_mov_b32_e32 v4, s3
	v_mov_b32_e32 v5, s0
	;; [unrolled: 1-line block ×3, first 2 shown]
.LBB62_7:                               ; =>This Inner Loop Header: Depth=1
	v_add_co_u32_e32 v7, vcc, s2, v1
	v_addc_co_u32_e32 v8, vcc, v4, v0, vcc
	v_add_co_u32_e32 v1, vcc, s12, v1
	v_addc_co_u32_e32 v0, vcc, v0, v5, vcc
	global_store_byte v[7:8], v2, off
	v_add_co_u32_e32 v2, vcc, s6, v2
	v_cmp_le_i32_e64 s[0:1], s7, v1
	s_or_b64 s[4:5], s[0:1], s[4:5]
	v_addc_co_u32_e32 v3, vcc, v3, v6, vcc
	s_andn2_b64 exec, exec, s[4:5]
	s_cbranch_execnz .LBB62_7
.LBB62_8:
	s_endpgm
	.section	.rodata,"a",@progbits
	.p2align	6, 0x0
	.amdhsa_kernel _ZN12_GLOBAL__N_141elementwise_kernel_with_index_grid_strideIiZZZN2at6native15arange_cuda_outERKN3c106ScalarES6_S6_RNS1_6TensorEENKUlvE_clEvENKUlvE_clEvEUllE_EEvT_T0_PN15function_traitsISD_E11result_typeE
		.amdhsa_group_segment_fixed_size 0
		.amdhsa_private_segment_fixed_size 0
		.amdhsa_kernarg_size 288
		.amdhsa_user_sgpr_count 6
		.amdhsa_user_sgpr_private_segment_buffer 1
		.amdhsa_user_sgpr_dispatch_ptr 0
		.amdhsa_user_sgpr_queue_ptr 0
		.amdhsa_user_sgpr_kernarg_segment_ptr 1
		.amdhsa_user_sgpr_dispatch_id 0
		.amdhsa_user_sgpr_flat_scratch_init 0
		.amdhsa_user_sgpr_private_segment_size 0
		.amdhsa_uses_dynamic_stack 0
		.amdhsa_system_sgpr_private_segment_wavefront_offset 0
		.amdhsa_system_sgpr_workgroup_id_x 1
		.amdhsa_system_sgpr_workgroup_id_y 0
		.amdhsa_system_sgpr_workgroup_id_z 0
		.amdhsa_system_sgpr_workgroup_info 0
		.amdhsa_system_vgpr_workitem_id 0
		.amdhsa_next_free_vgpr 24
		.amdhsa_next_free_sgpr 22
		.amdhsa_reserve_vcc 1
		.amdhsa_reserve_flat_scratch 0
		.amdhsa_float_round_mode_32 0
		.amdhsa_float_round_mode_16_64 0
		.amdhsa_float_denorm_mode_32 3
		.amdhsa_float_denorm_mode_16_64 3
		.amdhsa_dx10_clamp 1
		.amdhsa_ieee_mode 1
		.amdhsa_fp16_overflow 0
		.amdhsa_exception_fp_ieee_invalid_op 0
		.amdhsa_exception_fp_denorm_src 0
		.amdhsa_exception_fp_ieee_div_zero 0
		.amdhsa_exception_fp_ieee_overflow 0
		.amdhsa_exception_fp_ieee_underflow 0
		.amdhsa_exception_fp_ieee_inexact 0
		.amdhsa_exception_int_div_zero 0
	.end_amdhsa_kernel
	.section	.text._ZN12_GLOBAL__N_141elementwise_kernel_with_index_grid_strideIiZZZN2at6native15arange_cuda_outERKN3c106ScalarES6_S6_RNS1_6TensorEENKUlvE_clEvENKUlvE_clEvEUllE_EEvT_T0_PN15function_traitsISD_E11result_typeE,"axG",@progbits,_ZN12_GLOBAL__N_141elementwise_kernel_with_index_grid_strideIiZZZN2at6native15arange_cuda_outERKN3c106ScalarES6_S6_RNS1_6TensorEENKUlvE_clEvENKUlvE_clEvEUllE_EEvT_T0_PN15function_traitsISD_E11result_typeE,comdat
.Lfunc_end62:
	.size	_ZN12_GLOBAL__N_141elementwise_kernel_with_index_grid_strideIiZZZN2at6native15arange_cuda_outERKN3c106ScalarES6_S6_RNS1_6TensorEENKUlvE_clEvENKUlvE_clEvEUllE_EEvT_T0_PN15function_traitsISD_E11result_typeE, .Lfunc_end62-_ZN12_GLOBAL__N_141elementwise_kernel_with_index_grid_strideIiZZZN2at6native15arange_cuda_outERKN3c106ScalarES6_S6_RNS1_6TensorEENKUlvE_clEvENKUlvE_clEvEUllE_EEvT_T0_PN15function_traitsISD_E11result_typeE
                                        ; -- End function
	.set _ZN12_GLOBAL__N_141elementwise_kernel_with_index_grid_strideIiZZZN2at6native15arange_cuda_outERKN3c106ScalarES6_S6_RNS1_6TensorEENKUlvE_clEvENKUlvE_clEvEUllE_EEvT_T0_PN15function_traitsISD_E11result_typeE.num_vgpr, 24
	.set _ZN12_GLOBAL__N_141elementwise_kernel_with_index_grid_strideIiZZZN2at6native15arange_cuda_outERKN3c106ScalarES6_S6_RNS1_6TensorEENKUlvE_clEvENKUlvE_clEvEUllE_EEvT_T0_PN15function_traitsISD_E11result_typeE.num_agpr, 0
	.set _ZN12_GLOBAL__N_141elementwise_kernel_with_index_grid_strideIiZZZN2at6native15arange_cuda_outERKN3c106ScalarES6_S6_RNS1_6TensorEENKUlvE_clEvENKUlvE_clEvEUllE_EEvT_T0_PN15function_traitsISD_E11result_typeE.numbered_sgpr, 22
	.set _ZN12_GLOBAL__N_141elementwise_kernel_with_index_grid_strideIiZZZN2at6native15arange_cuda_outERKN3c106ScalarES6_S6_RNS1_6TensorEENKUlvE_clEvENKUlvE_clEvEUllE_EEvT_T0_PN15function_traitsISD_E11result_typeE.num_named_barrier, 0
	.set _ZN12_GLOBAL__N_141elementwise_kernel_with_index_grid_strideIiZZZN2at6native15arange_cuda_outERKN3c106ScalarES6_S6_RNS1_6TensorEENKUlvE_clEvENKUlvE_clEvEUllE_EEvT_T0_PN15function_traitsISD_E11result_typeE.private_seg_size, 0
	.set _ZN12_GLOBAL__N_141elementwise_kernel_with_index_grid_strideIiZZZN2at6native15arange_cuda_outERKN3c106ScalarES6_S6_RNS1_6TensorEENKUlvE_clEvENKUlvE_clEvEUllE_EEvT_T0_PN15function_traitsISD_E11result_typeE.uses_vcc, 1
	.set _ZN12_GLOBAL__N_141elementwise_kernel_with_index_grid_strideIiZZZN2at6native15arange_cuda_outERKN3c106ScalarES6_S6_RNS1_6TensorEENKUlvE_clEvENKUlvE_clEvEUllE_EEvT_T0_PN15function_traitsISD_E11result_typeE.uses_flat_scratch, 0
	.set _ZN12_GLOBAL__N_141elementwise_kernel_with_index_grid_strideIiZZZN2at6native15arange_cuda_outERKN3c106ScalarES6_S6_RNS1_6TensorEENKUlvE_clEvENKUlvE_clEvEUllE_EEvT_T0_PN15function_traitsISD_E11result_typeE.has_dyn_sized_stack, 0
	.set _ZN12_GLOBAL__N_141elementwise_kernel_with_index_grid_strideIiZZZN2at6native15arange_cuda_outERKN3c106ScalarES6_S6_RNS1_6TensorEENKUlvE_clEvENKUlvE_clEvEUllE_EEvT_T0_PN15function_traitsISD_E11result_typeE.has_recursion, 0
	.set _ZN12_GLOBAL__N_141elementwise_kernel_with_index_grid_strideIiZZZN2at6native15arange_cuda_outERKN3c106ScalarES6_S6_RNS1_6TensorEENKUlvE_clEvENKUlvE_clEvEUllE_EEvT_T0_PN15function_traitsISD_E11result_typeE.has_indirect_call, 0
	.section	.AMDGPU.csdata,"",@progbits
; Kernel info:
; codeLenInByte = 752
; TotalNumSgprs: 26
; NumVgprs: 24
; ScratchSize: 0
; MemoryBound: 0
; FloatMode: 240
; IeeeMode: 1
; LDSByteSize: 0 bytes/workgroup (compile time only)
; SGPRBlocks: 3
; VGPRBlocks: 5
; NumSGPRsForWavesPerEU: 26
; NumVGPRsForWavesPerEU: 24
; Occupancy: 10
; WaveLimiterHint : 0
; COMPUTE_PGM_RSRC2:SCRATCH_EN: 0
; COMPUTE_PGM_RSRC2:USER_SGPR: 6
; COMPUTE_PGM_RSRC2:TRAP_HANDLER: 0
; COMPUTE_PGM_RSRC2:TGID_X_EN: 1
; COMPUTE_PGM_RSRC2:TGID_Y_EN: 0
; COMPUTE_PGM_RSRC2:TGID_Z_EN: 0
; COMPUTE_PGM_RSRC2:TIDIG_COMP_CNT: 0
	.section	.text._ZN12_GLOBAL__N_141elementwise_kernel_with_index_grid_strideIlZZZN2at6native15arange_cuda_outERKN3c106ScalarES6_S6_RNS1_6TensorEENKUlvE_clEvENKUlvE_clEvEUllE_EEvT_T0_PN15function_traitsISD_E11result_typeE,"axG",@progbits,_ZN12_GLOBAL__N_141elementwise_kernel_with_index_grid_strideIlZZZN2at6native15arange_cuda_outERKN3c106ScalarES6_S6_RNS1_6TensorEENKUlvE_clEvENKUlvE_clEvEUllE_EEvT_T0_PN15function_traitsISD_E11result_typeE,comdat
	.globl	_ZN12_GLOBAL__N_141elementwise_kernel_with_index_grid_strideIlZZZN2at6native15arange_cuda_outERKN3c106ScalarES6_S6_RNS1_6TensorEENKUlvE_clEvENKUlvE_clEvEUllE_EEvT_T0_PN15function_traitsISD_E11result_typeE ; -- Begin function _ZN12_GLOBAL__N_141elementwise_kernel_with_index_grid_strideIlZZZN2at6native15arange_cuda_outERKN3c106ScalarES6_S6_RNS1_6TensorEENKUlvE_clEvENKUlvE_clEvEUllE_EEvT_T0_PN15function_traitsISD_E11result_typeE
	.p2align	8
	.type	_ZN12_GLOBAL__N_141elementwise_kernel_with_index_grid_strideIlZZZN2at6native15arange_cuda_outERKN3c106ScalarES6_S6_RNS1_6TensorEENKUlvE_clEvENKUlvE_clEvEUllE_EEvT_T0_PN15function_traitsISD_E11result_typeE,@function
_ZN12_GLOBAL__N_141elementwise_kernel_with_index_grid_strideIlZZZN2at6native15arange_cuda_outERKN3c106ScalarES6_S6_RNS1_6TensorEENKUlvE_clEvENKUlvE_clEvEUllE_EEvT_T0_PN15function_traitsISD_E11result_typeE: ; @_ZN12_GLOBAL__N_141elementwise_kernel_with_index_grid_strideIlZZZN2at6native15arange_cuda_outERKN3c106ScalarES6_S6_RNS1_6TensorEENKUlvE_clEvENKUlvE_clEvEUllE_EEvT_T0_PN15function_traitsISD_E11result_typeE
; %bb.0:
	s_load_dword s2, s[4:5], 0x2c
	s_load_dwordx8 s[8:15], s[4:5], 0x0
	s_add_u32 s0, s4, 32
	s_addc_u32 s1, s5, 0
	v_mov_b32_e32 v3, 0
	s_waitcnt lgkmcnt(0)
	s_and_b32 s20, s2, 0xffff
	s_mul_hi_u32 s21, s20, s6
	s_mul_i32 s22, s20, s6
	v_mov_b32_e32 v2, s21
	v_add_co_u32_e32 v1, vcc, s22, v0
	v_addc_co_u32_e32 v2, vcc, 0, v2, vcc
	v_cmp_gt_i64_e32 vcc, s[8:9], v[1:2]
	s_and_saveexec_b64 s[2:3], vcc
	s_cbranch_execz .LBB63_12
; %bb.1:
	s_load_dword s4, s[0:1], 0x0
	v_mov_b32_e32 v5, s8
	s_mov_b32 s5, 0
	s_waitcnt lgkmcnt(0)
	s_add_u32 s0, s6, s4
	s_addc_u32 s1, 0, 0
	s_mul_hi_u32 s2, s0, s20
	s_mul_i32 s1, s1, s20
	s_mul_i32 s23, s0, s20
	s_add_i32 s24, s2, s1
	v_mov_b32_e32 v4, s24
	v_add_co_u32_e32 v6, vcc, s23, v0
	v_addc_co_u32_e32 v7, vcc, 0, v4, vcc
	v_cmp_gt_i64_e32 vcc, s[8:9], v[6:7]
	v_mov_b32_e32 v4, s9
	v_cndmask_b32_e32 v8, v6, v5, vcc
	v_cndmask_b32_e64 v5, 0, 1, vcc
	v_cndmask_b32_e32 v4, v7, v4, vcc
	v_add_co_u32_e32 v6, vcc, v6, v5
	v_addc_co_u32_e32 v7, vcc, 0, v7, vcc
	v_sub_co_u32_e32 v6, vcc, v8, v6
	s_mul_hi_u32 s3, s20, s4
	v_subb_co_u32_e32 v7, vcc, v4, v7, vcc
	v_or_b32_e32 v4, s3, v7
	v_cmp_ne_u64_e32 vcc, 0, v[3:4]
	s_mul_i32 s2, s20, s4
                                        ; implicit-def: $vgpr3_vgpr4
	s_and_saveexec_b64 s[0:1], vcc
	s_xor_b64 s[16:17], exec, s[0:1]
	s_cbranch_execz .LBB63_3
; %bb.2:
	v_cvt_f32_u32_e32 v3, s2
	v_cvt_f32_u32_e32 v4, s3
	s_sub_u32 s7, 0, s2
	s_subb_u32 s18, 0, s3
	v_madmk_f32 v3, v4, 0x4f800000, v3
	v_rcp_f32_e32 v3, v3
	v_mul_f32_e32 v3, 0x5f7ffffc, v3
	v_mul_f32_e32 v4, 0x2f800000, v3
	v_trunc_f32_e32 v4, v4
	v_madmk_f32 v3, v4, 0xcf800000, v3
	v_cvt_u32_f32_e32 v4, v4
	v_cvt_u32_f32_e32 v3, v3
	v_readfirstlane_b32 s19, v4
	v_readfirstlane_b32 s0, v3
	s_mul_i32 s1, s7, s19
	s_mul_hi_u32 s26, s7, s0
	s_mul_i32 s25, s18, s0
	s_add_i32 s1, s26, s1
	s_mul_i32 s27, s7, s0
	s_add_i32 s1, s1, s25
	s_mul_i32 s26, s0, s1
	s_mul_hi_u32 s28, s0, s27
	s_mul_hi_u32 s25, s0, s1
	s_add_u32 s26, s28, s26
	s_addc_u32 s25, 0, s25
	s_mul_hi_u32 s29, s19, s27
	s_mul_i32 s27, s19, s27
	s_add_u32 s26, s26, s27
	s_mul_hi_u32 s28, s19, s1
	s_addc_u32 s25, s25, s29
	s_addc_u32 s26, s28, 0
	s_mul_i32 s1, s19, s1
	s_add_u32 s1, s25, s1
	s_addc_u32 s25, 0, s26
	s_add_u32 s26, s0, s1
	s_cselect_b64 s[0:1], -1, 0
	s_cmp_lg_u64 s[0:1], 0
	s_addc_u32 s19, s19, s25
	s_mul_i32 s0, s7, s19
	s_mul_hi_u32 s1, s7, s26
	s_add_i32 s0, s1, s0
	s_mul_i32 s18, s18, s26
	s_add_i32 s0, s0, s18
	s_mul_i32 s7, s7, s26
	s_mul_hi_u32 s18, s19, s7
	s_mul_i32 s25, s19, s7
	s_mul_i32 s28, s26, s0
	s_mul_hi_u32 s7, s26, s7
	s_mul_hi_u32 s27, s26, s0
	s_add_u32 s7, s7, s28
	s_addc_u32 s27, 0, s27
	s_add_u32 s7, s7, s25
	s_mul_hi_u32 s1, s19, s0
	s_addc_u32 s7, s27, s18
	s_addc_u32 s1, s1, 0
	s_mul_i32 s0, s19, s0
	s_add_u32 s0, s7, s0
	s_addc_u32 s7, 0, s1
	s_add_u32 s18, s26, s0
	s_cselect_b64 s[0:1], -1, 0
	s_cmp_lg_u64 s[0:1], 0
	s_addc_u32 s7, s19, s7
	v_mad_u64_u32 v[3:4], s[0:1], v6, s7, 0
	v_mul_hi_u32 v8, v6, s18
	v_add_co_u32_e32 v10, vcc, v8, v3
	v_addc_co_u32_e32 v11, vcc, 0, v4, vcc
	v_mad_u64_u32 v[3:4], s[0:1], v7, s18, 0
	v_mad_u64_u32 v[8:9], s[0:1], v7, s7, 0
	v_add_co_u32_e32 v3, vcc, v10, v3
	v_addc_co_u32_e32 v3, vcc, v11, v4, vcc
	v_addc_co_u32_e32 v4, vcc, 0, v9, vcc
	v_add_co_u32_e32 v8, vcc, v3, v8
	v_addc_co_u32_e32 v9, vcc, 0, v4, vcc
	v_mul_lo_u32 v10, s3, v8
	v_mul_lo_u32 v11, s2, v9
	v_mad_u64_u32 v[3:4], s[0:1], s2, v8, 0
	v_add3_u32 v4, v4, v11, v10
	v_sub_u32_e32 v10, v7, v4
	v_mov_b32_e32 v11, s3
	v_sub_co_u32_e32 v3, vcc, v6, v3
	v_subb_co_u32_e64 v6, s[0:1], v10, v11, vcc
	v_subrev_co_u32_e64 v10, s[0:1], s2, v3
	v_subbrev_co_u32_e64 v6, s[0:1], 0, v6, s[0:1]
	v_cmp_le_u32_e64 s[0:1], s3, v6
	v_cndmask_b32_e64 v11, 0, -1, s[0:1]
	v_cmp_le_u32_e64 s[0:1], s2, v10
	v_cndmask_b32_e64 v10, 0, -1, s[0:1]
	v_cmp_eq_u32_e64 s[0:1], s3, v6
	v_cndmask_b32_e64 v6, v11, v10, s[0:1]
	v_add_co_u32_e64 v10, s[0:1], 2, v8
	v_subb_co_u32_e32 v4, vcc, v7, v4, vcc
	v_addc_co_u32_e64 v11, s[0:1], 0, v9, s[0:1]
	v_cmp_le_u32_e32 vcc, s3, v4
	v_add_co_u32_e64 v12, s[0:1], 1, v8
	v_cndmask_b32_e64 v7, 0, -1, vcc
	v_cmp_le_u32_e32 vcc, s2, v3
	v_addc_co_u32_e64 v13, s[0:1], 0, v9, s[0:1]
	v_cndmask_b32_e64 v3, 0, -1, vcc
	v_cmp_eq_u32_e32 vcc, s3, v4
	v_cmp_ne_u32_e64 s[0:1], 0, v6
	v_cndmask_b32_e32 v3, v7, v3, vcc
	v_cndmask_b32_e64 v6, v13, v11, s[0:1]
	v_cmp_ne_u32_e32 vcc, 0, v3
	v_cndmask_b32_e64 v3, v12, v10, s[0:1]
	v_cndmask_b32_e32 v4, v9, v6, vcc
	v_cndmask_b32_e32 v3, v8, v3, vcc
                                        ; implicit-def: $vgpr6
.LBB63_3:
	s_andn2_saveexec_b64 s[0:1], s[16:17]
	s_cbranch_execz .LBB63_5
; %bb.4:
	v_cvt_f32_u32_e32 v3, s2
	s_sub_i32 s7, 0, s2
	v_rcp_iflag_f32_e32 v3, v3
	v_mul_f32_e32 v3, 0x4f7ffffe, v3
	v_cvt_u32_f32_e32 v3, v3
	v_mul_lo_u32 v4, s7, v3
	v_mul_hi_u32 v4, v3, v4
	v_add_u32_e32 v3, v3, v4
	v_mul_hi_u32 v3, v6, v3
	v_mul_lo_u32 v4, v3, s2
	v_add_u32_e32 v7, 1, v3
	v_sub_u32_e32 v4, v6, v4
	v_subrev_u32_e32 v6, s2, v4
	v_cmp_le_u32_e32 vcc, s2, v4
	v_cndmask_b32_e32 v4, v4, v6, vcc
	v_cndmask_b32_e32 v3, v3, v7, vcc
	v_add_u32_e32 v6, 1, v3
	v_cmp_le_u32_e32 vcc, s2, v4
	v_cndmask_b32_e32 v3, v3, v6, vcc
	v_mov_b32_e32 v4, 0
.LBB63_5:
	s_or_b64 exec, exec, s[0:1]
	v_add_co_u32_e32 v3, vcc, v3, v5
	v_addc_co_u32_e32 v4, vcc, 0, v4, vcc
	v_add_co_u32_e32 v11, vcc, 1, v3
	v_addc_co_u32_e32 v12, vcc, 0, v4, vcc
	v_cmp_lt_u64_e32 vcc, 3, v[11:12]
	s_mov_b64 s[0:1], -1
	s_and_saveexec_b64 s[16:17], vcc
	s_cbranch_execz .LBB63_9
; %bb.6:
	v_mad_u64_u32 v[7:8], s[0:1], s2, 3, v[1:2]
	v_mad_u64_u32 v[5:6], s[0:1], s2, 2, v[1:2]
	;; [unrolled: 1-line block ×4, first 2 shown]
	s_lshl_b64 s[18:19], s[2:3], 2
	s_mul_i32 s1, s4, 3
	s_mul_hi_u32 s0, s4, 3
	s_add_u32 s1, s1, s6
	s_addc_u32 s0, s0, 0
	s_mul_i32 s0, s0, s20
	s_mul_hi_u32 s7, s1, s20
	s_add_i32 s44, s7, s0
	s_mul_i32 s45, s1, s20
	s_lshl_b64 s[0:1], s[4:5], 1
	s_add_u32 s0, s0, s6
	v_mov_b32_e32 v14, v12
	v_lshl_add_u32 v6, s3, 1, v6
	v_add_u32_e32 v4, s3, v4
	v_mov_b32_e32 v9, s15
	v_add_co_u32_e32 v0, vcc, s14, v0
	s_addc_u32 s1, s1, 0
	v_and_b32_e32 v13, -4, v11
	v_addc_co_u32_e32 v17, vcc, 0, v9, vcc
	s_mul_i32 s1, s1, s20
	s_mul_hi_u32 s5, s0, s20
	v_mov_b32_e32 v16, v14
	v_mov_b32_e32 v10, v8
	s_mov_b32 s25, s12
	s_mov_b32 s26, s12
	;; [unrolled: 1-line block ×18, first 2 shown]
	s_add_i32 s5, s5, s1
	s_mul_i32 s46, s0, s20
	s_mov_b64 s[6:7], 0
	v_mov_b32_e32 v15, v13
	v_mov_b32_e32 v9, v7
	v_mov_b32_e32 v8, v6
	v_mov_b32_e32 v7, v5
	v_mov_b32_e32 v6, v4
	v_mov_b32_e32 v5, v3
	v_mov_b32_e32 v4, v2
	v_mov_b32_e32 v3, v1
.LBB63_7:                               ; =>This Inner Loop Header: Depth=1
	v_mov_b32_e32 v18, s31
	v_mov_b32_e32 v19, s33
	v_mad_u64_u32 v[18:19], s[0:1], v5, s26, v[18:19]
	v_mov_b32_e32 v19, s30
	v_lshlrev_b16_e32 v20, 8, v18
	v_mov_b32_e32 v18, s29
	v_mad_u64_u32 v[18:19], s[0:1], v3, s25, v[18:19]
	v_mov_b32_e32 v19, s21
	v_or_b32_sdwa v20, v18, v20 dst_sel:DWORD dst_unused:UNUSED_PAD src0_sel:BYTE_0 src1_sel:DWORD
	v_add_co_u32_e32 v18, vcc, s22, v0
	v_addc_co_u32_e32 v19, vcc, v17, v19, vcc
	v_and_b32_e32 v20, 0xffff, v20
	global_store_byte v[18:19], v20, off
	v_mov_b32_e32 v19, s24
	v_add_co_u32_e32 v18, vcc, s23, v0
	v_addc_co_u32_e32 v19, vcc, v17, v19, vcc
	v_lshrrev_b32_e32 v20, 8, v20
	global_store_byte v[18:19], v20, off
	v_mov_b32_e32 v18, s36
	v_mov_b32_e32 v19, s37
	v_mad_u64_u32 v[18:19], s[0:1], v9, s28, v[18:19]
	v_mov_b32_e32 v19, s35
	v_lshlrev_b16_e32 v20, 8, v18
	v_mov_b32_e32 v18, s34
	v_mad_u64_u32 v[18:19], s[0:1], v7, s27, v[18:19]
	v_mov_b32_e32 v19, s5
	v_add_co_u32_e64 v3, s[0:1], s18, v3
	v_or_b32_sdwa v20, v18, v20 dst_sel:DWORD dst_unused:UNUSED_PAD src0_sel:BYTE_0 src1_sel:DWORD
	v_add_co_u32_e32 v18, vcc, s46, v0
	v_addc_co_u32_e32 v19, vcc, v17, v19, vcc
	global_store_byte v[18:19], v20, off
	v_mov_b32_e32 v19, s44
	v_add_co_u32_e32 v18, vcc, s45, v0
	v_addc_co_u32_e32 v19, vcc, v17, v19, vcc
	v_lshrrev_b32_e32 v20, 8, v20
	global_store_byte v[18:19], v20, off
	v_mov_b32_e32 v18, s19
	v_add_co_u32_e32 v0, vcc, s18, v0
	v_addc_co_u32_e32 v17, vcc, v17, v18, vcc
	v_mov_b32_e32 v18, s43
	v_add_co_u32_e32 v9, vcc, s42, v9
	v_addc_co_u32_e32 v10, vcc, v10, v18, vcc
	v_mov_b32_e32 v18, s41
	v_add_co_u32_e32 v7, vcc, s40, v7
	v_addc_co_u32_e32 v8, vcc, v8, v18, vcc
	v_mov_b32_e32 v18, s39
	v_add_co_u32_e32 v5, vcc, s38, v5
	v_addc_co_u32_e32 v6, vcc, v6, v18, vcc
	v_add_co_u32_e32 v15, vcc, -4, v15
	v_addc_co_u32_e32 v16, vcc, -1, v16, vcc
	v_cmp_eq_u64_e32 vcc, 0, v[15:16]
	v_mov_b32_e32 v18, s19
	s_or_b64 s[6:7], vcc, s[6:7]
	v_addc_co_u32_e64 v4, vcc, v4, v18, s[0:1]
	s_andn2_b64 exec, exec, s[6:7]
	s_cbranch_execnz .LBB63_7
; %bb.8:
	s_or_b64 exec, exec, s[6:7]
	v_mad_u64_u32 v[1:2], s[0:1], v13, s2, v[1:2]
	v_mul_lo_u32 v0, v13, s3
	v_mul_lo_u32 v3, v14, s2
	v_cmp_ne_u64_e32 vcc, v[11:12], v[13:14]
	s_orn2_b64 s[0:1], vcc, exec
	v_add3_u32 v2, v3, v2, v0
.LBB63_9:
	s_or_b64 exec, exec, s[16:17]
	s_and_b64 exec, exec, s[0:1]
	s_cbranch_execz .LBB63_12
; %bb.10:
	v_mov_b32_e32 v3, s10
	v_mov_b32_e32 v4, s11
	v_mad_u64_u32 v[3:4], s[0:1], v1, s12, v[3:4]
	v_mul_lo_u32 v0, v1, s13
	v_mul_lo_u32 v5, v2, s12
	s_mul_i32 s0, s13, s20
	s_mul_hi_u32 s1, s12, s20
	s_add_i32 s0, s1, s0
	s_mul_i32 s1, s12, s20
	s_mul_i32 s0, s0, s4
	s_mul_hi_u32 s5, s1, s4
	s_add_i32 s0, s5, s0
	v_add3_u32 v4, v5, v4, v0
	s_mul_i32 s6, s1, s4
	s_mov_b64 s[4:5], 0
	v_mov_b32_e32 v0, s15
	v_mov_b32_e32 v5, s3
	;; [unrolled: 1-line block ×3, first 2 shown]
.LBB63_11:                              ; =>This Inner Loop Header: Depth=1
	v_add_co_u32_e32 v7, vcc, s14, v1
	v_addc_co_u32_e32 v8, vcc, v0, v2, vcc
	v_add_co_u32_e32 v1, vcc, s2, v1
	v_addc_co_u32_e32 v2, vcc, v2, v5, vcc
	v_cmp_le_i64_e32 vcc, s[8:9], v[1:2]
	global_store_byte v[7:8], v3, off
	v_add_co_u32_e64 v3, s[0:1], s6, v3
	s_or_b64 s[4:5], vcc, s[4:5]
	v_addc_co_u32_e64 v4, vcc, v4, v6, s[0:1]
	s_andn2_b64 exec, exec, s[4:5]
	s_cbranch_execnz .LBB63_11
.LBB63_12:
	s_endpgm
	.section	.rodata,"a",@progbits
	.p2align	6, 0x0
	.amdhsa_kernel _ZN12_GLOBAL__N_141elementwise_kernel_with_index_grid_strideIlZZZN2at6native15arange_cuda_outERKN3c106ScalarES6_S6_RNS1_6TensorEENKUlvE_clEvENKUlvE_clEvEUllE_EEvT_T0_PN15function_traitsISD_E11result_typeE
		.amdhsa_group_segment_fixed_size 0
		.amdhsa_private_segment_fixed_size 0
		.amdhsa_kernarg_size 288
		.amdhsa_user_sgpr_count 6
		.amdhsa_user_sgpr_private_segment_buffer 1
		.amdhsa_user_sgpr_dispatch_ptr 0
		.amdhsa_user_sgpr_queue_ptr 0
		.amdhsa_user_sgpr_kernarg_segment_ptr 1
		.amdhsa_user_sgpr_dispatch_id 0
		.amdhsa_user_sgpr_flat_scratch_init 0
		.amdhsa_user_sgpr_private_segment_size 0
		.amdhsa_uses_dynamic_stack 0
		.amdhsa_system_sgpr_private_segment_wavefront_offset 0
		.amdhsa_system_sgpr_workgroup_id_x 1
		.amdhsa_system_sgpr_workgroup_id_y 0
		.amdhsa_system_sgpr_workgroup_id_z 0
		.amdhsa_system_sgpr_workgroup_info 0
		.amdhsa_system_vgpr_workitem_id 0
		.amdhsa_next_free_vgpr 21
		.amdhsa_next_free_sgpr 47
		.amdhsa_reserve_vcc 1
		.amdhsa_reserve_flat_scratch 0
		.amdhsa_float_round_mode_32 0
		.amdhsa_float_round_mode_16_64 0
		.amdhsa_float_denorm_mode_32 3
		.amdhsa_float_denorm_mode_16_64 3
		.amdhsa_dx10_clamp 1
		.amdhsa_ieee_mode 1
		.amdhsa_fp16_overflow 0
		.amdhsa_exception_fp_ieee_invalid_op 0
		.amdhsa_exception_fp_denorm_src 0
		.amdhsa_exception_fp_ieee_div_zero 0
		.amdhsa_exception_fp_ieee_overflow 0
		.amdhsa_exception_fp_ieee_underflow 0
		.amdhsa_exception_fp_ieee_inexact 0
		.amdhsa_exception_int_div_zero 0
	.end_amdhsa_kernel
	.section	.text._ZN12_GLOBAL__N_141elementwise_kernel_with_index_grid_strideIlZZZN2at6native15arange_cuda_outERKN3c106ScalarES6_S6_RNS1_6TensorEENKUlvE_clEvENKUlvE_clEvEUllE_EEvT_T0_PN15function_traitsISD_E11result_typeE,"axG",@progbits,_ZN12_GLOBAL__N_141elementwise_kernel_with_index_grid_strideIlZZZN2at6native15arange_cuda_outERKN3c106ScalarES6_S6_RNS1_6TensorEENKUlvE_clEvENKUlvE_clEvEUllE_EEvT_T0_PN15function_traitsISD_E11result_typeE,comdat
.Lfunc_end63:
	.size	_ZN12_GLOBAL__N_141elementwise_kernel_with_index_grid_strideIlZZZN2at6native15arange_cuda_outERKN3c106ScalarES6_S6_RNS1_6TensorEENKUlvE_clEvENKUlvE_clEvEUllE_EEvT_T0_PN15function_traitsISD_E11result_typeE, .Lfunc_end63-_ZN12_GLOBAL__N_141elementwise_kernel_with_index_grid_strideIlZZZN2at6native15arange_cuda_outERKN3c106ScalarES6_S6_RNS1_6TensorEENKUlvE_clEvENKUlvE_clEvEUllE_EEvT_T0_PN15function_traitsISD_E11result_typeE
                                        ; -- End function
	.set _ZN12_GLOBAL__N_141elementwise_kernel_with_index_grid_strideIlZZZN2at6native15arange_cuda_outERKN3c106ScalarES6_S6_RNS1_6TensorEENKUlvE_clEvENKUlvE_clEvEUllE_EEvT_T0_PN15function_traitsISD_E11result_typeE.num_vgpr, 21
	.set _ZN12_GLOBAL__N_141elementwise_kernel_with_index_grid_strideIlZZZN2at6native15arange_cuda_outERKN3c106ScalarES6_S6_RNS1_6TensorEENKUlvE_clEvENKUlvE_clEvEUllE_EEvT_T0_PN15function_traitsISD_E11result_typeE.num_agpr, 0
	.set _ZN12_GLOBAL__N_141elementwise_kernel_with_index_grid_strideIlZZZN2at6native15arange_cuda_outERKN3c106ScalarES6_S6_RNS1_6TensorEENKUlvE_clEvENKUlvE_clEvEUllE_EEvT_T0_PN15function_traitsISD_E11result_typeE.numbered_sgpr, 47
	.set _ZN12_GLOBAL__N_141elementwise_kernel_with_index_grid_strideIlZZZN2at6native15arange_cuda_outERKN3c106ScalarES6_S6_RNS1_6TensorEENKUlvE_clEvENKUlvE_clEvEUllE_EEvT_T0_PN15function_traitsISD_E11result_typeE.num_named_barrier, 0
	.set _ZN12_GLOBAL__N_141elementwise_kernel_with_index_grid_strideIlZZZN2at6native15arange_cuda_outERKN3c106ScalarES6_S6_RNS1_6TensorEENKUlvE_clEvENKUlvE_clEvEUllE_EEvT_T0_PN15function_traitsISD_E11result_typeE.private_seg_size, 0
	.set _ZN12_GLOBAL__N_141elementwise_kernel_with_index_grid_strideIlZZZN2at6native15arange_cuda_outERKN3c106ScalarES6_S6_RNS1_6TensorEENKUlvE_clEvENKUlvE_clEvEUllE_EEvT_T0_PN15function_traitsISD_E11result_typeE.uses_vcc, 1
	.set _ZN12_GLOBAL__N_141elementwise_kernel_with_index_grid_strideIlZZZN2at6native15arange_cuda_outERKN3c106ScalarES6_S6_RNS1_6TensorEENKUlvE_clEvENKUlvE_clEvEUllE_EEvT_T0_PN15function_traitsISD_E11result_typeE.uses_flat_scratch, 0
	.set _ZN12_GLOBAL__N_141elementwise_kernel_with_index_grid_strideIlZZZN2at6native15arange_cuda_outERKN3c106ScalarES6_S6_RNS1_6TensorEENKUlvE_clEvENKUlvE_clEvEUllE_EEvT_T0_PN15function_traitsISD_E11result_typeE.has_dyn_sized_stack, 0
	.set _ZN12_GLOBAL__N_141elementwise_kernel_with_index_grid_strideIlZZZN2at6native15arange_cuda_outERKN3c106ScalarES6_S6_RNS1_6TensorEENKUlvE_clEvENKUlvE_clEvEUllE_EEvT_T0_PN15function_traitsISD_E11result_typeE.has_recursion, 0
	.set _ZN12_GLOBAL__N_141elementwise_kernel_with_index_grid_strideIlZZZN2at6native15arange_cuda_outERKN3c106ScalarES6_S6_RNS1_6TensorEENKUlvE_clEvENKUlvE_clEvEUllE_EEvT_T0_PN15function_traitsISD_E11result_typeE.has_indirect_call, 0
	.section	.AMDGPU.csdata,"",@progbits
; Kernel info:
; codeLenInByte = 1616
; TotalNumSgprs: 51
; NumVgprs: 21
; ScratchSize: 0
; MemoryBound: 0
; FloatMode: 240
; IeeeMode: 1
; LDSByteSize: 0 bytes/workgroup (compile time only)
; SGPRBlocks: 6
; VGPRBlocks: 5
; NumSGPRsForWavesPerEU: 51
; NumVGPRsForWavesPerEU: 21
; Occupancy: 10
; WaveLimiterHint : 0
; COMPUTE_PGM_RSRC2:SCRATCH_EN: 0
; COMPUTE_PGM_RSRC2:USER_SGPR: 6
; COMPUTE_PGM_RSRC2:TRAP_HANDLER: 0
; COMPUTE_PGM_RSRC2:TGID_X_EN: 1
; COMPUTE_PGM_RSRC2:TGID_Y_EN: 0
; COMPUTE_PGM_RSRC2:TGID_Z_EN: 0
; COMPUTE_PGM_RSRC2:TIDIG_COMP_CNT: 0
	.section	.text._ZN12_GLOBAL__N_141elementwise_kernel_with_index_grid_strideIiZZZN2at6native15arange_cuda_outERKN3c106ScalarES6_S6_RNS1_6TensorEENKUlvE_clEvENKUlvE0_clEvEUllE_EEvT_T0_PN15function_traitsISD_E11result_typeE,"axG",@progbits,_ZN12_GLOBAL__N_141elementwise_kernel_with_index_grid_strideIiZZZN2at6native15arange_cuda_outERKN3c106ScalarES6_S6_RNS1_6TensorEENKUlvE_clEvENKUlvE0_clEvEUllE_EEvT_T0_PN15function_traitsISD_E11result_typeE,comdat
	.globl	_ZN12_GLOBAL__N_141elementwise_kernel_with_index_grid_strideIiZZZN2at6native15arange_cuda_outERKN3c106ScalarES6_S6_RNS1_6TensorEENKUlvE_clEvENKUlvE0_clEvEUllE_EEvT_T0_PN15function_traitsISD_E11result_typeE ; -- Begin function _ZN12_GLOBAL__N_141elementwise_kernel_with_index_grid_strideIiZZZN2at6native15arange_cuda_outERKN3c106ScalarES6_S6_RNS1_6TensorEENKUlvE_clEvENKUlvE0_clEvEUllE_EEvT_T0_PN15function_traitsISD_E11result_typeE
	.p2align	8
	.type	_ZN12_GLOBAL__N_141elementwise_kernel_with_index_grid_strideIiZZZN2at6native15arange_cuda_outERKN3c106ScalarES6_S6_RNS1_6TensorEENKUlvE_clEvENKUlvE0_clEvEUllE_EEvT_T0_PN15function_traitsISD_E11result_typeE,@function
_ZN12_GLOBAL__N_141elementwise_kernel_with_index_grid_strideIiZZZN2at6native15arange_cuda_outERKN3c106ScalarES6_S6_RNS1_6TensorEENKUlvE_clEvENKUlvE0_clEvEUllE_EEvT_T0_PN15function_traitsISD_E11result_typeE: ; @_ZN12_GLOBAL__N_141elementwise_kernel_with_index_grid_strideIiZZZN2at6native15arange_cuda_outERKN3c106ScalarES6_S6_RNS1_6TensorEENKUlvE_clEvENKUlvE0_clEvEUllE_EEvT_T0_PN15function_traitsISD_E11result_typeE
; %bb.0:
	s_load_dword s2, s[4:5], 0x2c
	s_load_dword s7, s[4:5], 0x0
	s_add_u32 s0, s4, 32
	s_addc_u32 s1, s5, 0
	s_waitcnt lgkmcnt(0)
	s_and_b32 s2, s2, 0xffff
	s_mul_i32 s3, s6, s2
	v_add_u32_e32 v1, s3, v0
	v_cmp_gt_i32_e32 vcc, s7, v1
	s_and_saveexec_b64 s[8:9], vcc
	s_cbranch_execz .LBB64_8
; %bb.1:
	s_load_dword s0, s[0:1], 0x0
	s_waitcnt lgkmcnt(0)
	s_mul_i32 s12, s0, s2
	v_cvt_f32_u32_e32 v2, s12
	s_sub_i32 s1, 0, s12
	s_add_i32 s0, s6, s0
	s_mul_i32 s0, s0, s2
	v_rcp_iflag_f32_e32 v2, v2
	v_add_u32_e32 v4, s0, v0
	v_mov_b32_e32 v5, s0
	v_cmp_gt_i32_e32 vcc, s7, v4
	v_mul_f32_e32 v2, 0x4f7ffffe, v2
	v_cvt_u32_f32_e32 v2, v2
	v_max_i32_e32 v6, s7, v4
	s_load_dwordx4 s[8:11], s[4:5], 0x8
	s_load_dwordx2 s[2:3], s[4:5], 0x18
	s_mov_b64 s[4:5], -1
	v_mul_lo_u32 v3, s1, v2
	v_addc_co_u32_e64 v0, s[0:1], v0, v5, vcc
	v_sub_u32_e32 v0, v6, v0
	v_mul_hi_u32 v3, v2, v3
	v_add_u32_e32 v2, v2, v3
	v_mul_hi_u32 v2, v0, v2
	v_mul_lo_u32 v3, v2, s12
	v_add_u32_e32 v4, 1, v2
	v_sub_u32_e32 v0, v0, v3
	v_cmp_le_u32_e64 s[0:1], s12, v0
	v_subrev_u32_e32 v3, s12, v0
	v_cndmask_b32_e64 v2, v2, v4, s[0:1]
	v_cndmask_b32_e64 v0, v0, v3, s[0:1]
	v_add_u32_e32 v3, 1, v2
	v_cmp_le_u32_e64 s[0:1], s12, v0
	v_cndmask_b32_e64 v0, v2, v3, s[0:1]
	v_addc_co_u32_e32 v0, vcc, 1, v0, vcc
	v_cmp_lt_u32_e32 vcc, 3, v0
	s_and_saveexec_b64 s[0:1], vcc
	s_cbranch_execz .LBB64_5
; %bb.2:
	v_add_u32_e32 v2, s12, v1
	v_mad_u64_u32 v[4:5], s[4:5], s12, 3, v[1:2]
	v_lshl_add_u32 v3, s12, 1, v1
	v_and_b32_e32 v14, -4, v0
	s_lshl_b32 s16, s12, 2
	v_mov_b32_e32 v5, v4
	s_waitcnt lgkmcnt(0)
	s_mov_b32 s6, s10
	s_mov_b32 s13, s10
	;; [unrolled: 1-line block ×7, first 2 shown]
	s_mov_b64 s[4:5], 0
	v_mov_b32_e32 v6, s8
	v_mov_b32_e32 v7, s9
	;; [unrolled: 1-line block ×13, first 2 shown]
.LBB64_3:                               ; =>This Inner Loop Header: Depth=1
	v_mad_u64_u32 v[17:18], s[20:21], s13, v3, v[8:9]
	v_mad_u64_u32 v[18:19], s[20:21], s6, v2, v[6:7]
	v_lshlrev_b16_e32 v17, 8, v17
	v_ashrrev_i32_e32 v21, 31, v2
	v_or_b32_sdwa v22, v18, v17 dst_sel:DWORD dst_unused:UNUSED_PAD src0_sel:BYTE_0 src1_sel:DWORD
	v_add_co_u32_e32 v17, vcc, s2, v2
	v_addc_co_u32_e32 v18, vcc, v15, v21, vcc
	v_and_b32_e32 v22, 0xffff, v22
	v_ashrrev_i32_e32 v19, 31, v3
	v_mov_b32_e32 v21, s3
	global_store_byte v[17:18], v22, off
	v_add_co_u32_e32 v17, vcc, s2, v3
	v_addc_co_u32_e32 v18, vcc, v21, v19, vcc
	v_lshrrev_b32_e32 v22, 8, v22
	v_ashrrev_i32_e32 v19, 31, v4
	global_store_byte v[17:18], v22, off
	v_add_co_u32_e32 v17, vcc, s2, v4
	v_addc_co_u32_e32 v18, vcc, v21, v19, vcc
	v_ashrrev_i32_e32 v20, 31, v5
	v_add_co_u32_e32 v19, vcc, s2, v5
	v_addc_co_u32_e32 v20, vcc, v21, v20, vcc
	v_mad_u64_u32 v[21:22], s[20:21], s15, v5, v[12:13]
	v_add_u32_e32 v16, -4, v16
	v_cmp_eq_u32_e32 vcc, 0, v16
	v_lshlrev_b16_e32 v23, 8, v21
	v_mad_u64_u32 v[21:22], s[20:21], s14, v4, v[10:11]
	v_add_u32_e32 v5, s19, v5
	v_add_u32_e32 v4, s18, v4
	v_or_b32_sdwa v21, v21, v23 dst_sel:DWORD dst_unused:UNUSED_PAD src0_sel:BYTE_0 src1_sel:DWORD
	v_add_u32_e32 v3, s17, v3
	v_add_u32_e32 v2, s16, v2
	s_or_b64 s[4:5], vcc, s[4:5]
	v_lshrrev_b32_e32 v22, 8, v21
	global_store_byte v[17:18], v21, off
	global_store_byte v[19:20], v22, off
	s_andn2_b64 exec, exec, s[4:5]
	s_cbranch_execnz .LBB64_3
; %bb.4:
	s_or_b64 exec, exec, s[4:5]
	v_mad_u64_u32 v[1:2], s[4:5], v14, s12, v[1:2]
	v_cmp_ne_u32_e32 vcc, v0, v14
	s_orn2_b64 s[4:5], vcc, exec
.LBB64_5:
	s_or_b64 exec, exec, s[0:1]
	s_and_b64 exec, exec, s[4:5]
	s_cbranch_execz .LBB64_8
; %bb.6:
	s_waitcnt lgkmcnt(0)
	v_mov_b32_e32 v2, s8
	v_mov_b32_e32 v3, s9
	v_ashrrev_i32_e32 v0, 31, v1
	v_mad_u64_u32 v[2:3], s[0:1], s10, v1, v[2:3]
	v_mul_lo_u32 v4, s11, v1
	v_mul_lo_u32 v5, s10, v0
	s_ashr_i32 s0, s12, 31
	s_mul_hi_u32 s1, s10, s12
	s_mul_i32 s4, s10, s0
	s_add_i32 s1, s1, s4
	s_mul_i32 s4, s11, s12
	s_add_i32 s1, s1, s4
	v_add3_u32 v3, v4, v3, v5
	s_mul_i32 s6, s10, s12
	s_mov_b64 s[4:5], 0
	v_mov_b32_e32 v4, s3
	v_mov_b32_e32 v5, s0
	;; [unrolled: 1-line block ×3, first 2 shown]
.LBB64_7:                               ; =>This Inner Loop Header: Depth=1
	v_add_co_u32_e32 v7, vcc, s2, v1
	v_addc_co_u32_e32 v8, vcc, v4, v0, vcc
	v_add_co_u32_e32 v1, vcc, s12, v1
	v_addc_co_u32_e32 v0, vcc, v0, v5, vcc
	global_store_byte v[7:8], v2, off
	v_add_co_u32_e32 v2, vcc, s6, v2
	v_cmp_le_i32_e64 s[0:1], s7, v1
	s_or_b64 s[4:5], s[0:1], s[4:5]
	v_addc_co_u32_e32 v3, vcc, v3, v6, vcc
	s_andn2_b64 exec, exec, s[4:5]
	s_cbranch_execnz .LBB64_7
.LBB64_8:
	s_endpgm
	.section	.rodata,"a",@progbits
	.p2align	6, 0x0
	.amdhsa_kernel _ZN12_GLOBAL__N_141elementwise_kernel_with_index_grid_strideIiZZZN2at6native15arange_cuda_outERKN3c106ScalarES6_S6_RNS1_6TensorEENKUlvE_clEvENKUlvE0_clEvEUllE_EEvT_T0_PN15function_traitsISD_E11result_typeE
		.amdhsa_group_segment_fixed_size 0
		.amdhsa_private_segment_fixed_size 0
		.amdhsa_kernarg_size 288
		.amdhsa_user_sgpr_count 6
		.amdhsa_user_sgpr_private_segment_buffer 1
		.amdhsa_user_sgpr_dispatch_ptr 0
		.amdhsa_user_sgpr_queue_ptr 0
		.amdhsa_user_sgpr_kernarg_segment_ptr 1
		.amdhsa_user_sgpr_dispatch_id 0
		.amdhsa_user_sgpr_flat_scratch_init 0
		.amdhsa_user_sgpr_private_segment_size 0
		.amdhsa_uses_dynamic_stack 0
		.amdhsa_system_sgpr_private_segment_wavefront_offset 0
		.amdhsa_system_sgpr_workgroup_id_x 1
		.amdhsa_system_sgpr_workgroup_id_y 0
		.amdhsa_system_sgpr_workgroup_id_z 0
		.amdhsa_system_sgpr_workgroup_info 0
		.amdhsa_system_vgpr_workitem_id 0
		.amdhsa_next_free_vgpr 24
		.amdhsa_next_free_sgpr 22
		.amdhsa_reserve_vcc 1
		.amdhsa_reserve_flat_scratch 0
		.amdhsa_float_round_mode_32 0
		.amdhsa_float_round_mode_16_64 0
		.amdhsa_float_denorm_mode_32 3
		.amdhsa_float_denorm_mode_16_64 3
		.amdhsa_dx10_clamp 1
		.amdhsa_ieee_mode 1
		.amdhsa_fp16_overflow 0
		.amdhsa_exception_fp_ieee_invalid_op 0
		.amdhsa_exception_fp_denorm_src 0
		.amdhsa_exception_fp_ieee_div_zero 0
		.amdhsa_exception_fp_ieee_overflow 0
		.amdhsa_exception_fp_ieee_underflow 0
		.amdhsa_exception_fp_ieee_inexact 0
		.amdhsa_exception_int_div_zero 0
	.end_amdhsa_kernel
	.section	.text._ZN12_GLOBAL__N_141elementwise_kernel_with_index_grid_strideIiZZZN2at6native15arange_cuda_outERKN3c106ScalarES6_S6_RNS1_6TensorEENKUlvE_clEvENKUlvE0_clEvEUllE_EEvT_T0_PN15function_traitsISD_E11result_typeE,"axG",@progbits,_ZN12_GLOBAL__N_141elementwise_kernel_with_index_grid_strideIiZZZN2at6native15arange_cuda_outERKN3c106ScalarES6_S6_RNS1_6TensorEENKUlvE_clEvENKUlvE0_clEvEUllE_EEvT_T0_PN15function_traitsISD_E11result_typeE,comdat
.Lfunc_end64:
	.size	_ZN12_GLOBAL__N_141elementwise_kernel_with_index_grid_strideIiZZZN2at6native15arange_cuda_outERKN3c106ScalarES6_S6_RNS1_6TensorEENKUlvE_clEvENKUlvE0_clEvEUllE_EEvT_T0_PN15function_traitsISD_E11result_typeE, .Lfunc_end64-_ZN12_GLOBAL__N_141elementwise_kernel_with_index_grid_strideIiZZZN2at6native15arange_cuda_outERKN3c106ScalarES6_S6_RNS1_6TensorEENKUlvE_clEvENKUlvE0_clEvEUllE_EEvT_T0_PN15function_traitsISD_E11result_typeE
                                        ; -- End function
	.set _ZN12_GLOBAL__N_141elementwise_kernel_with_index_grid_strideIiZZZN2at6native15arange_cuda_outERKN3c106ScalarES6_S6_RNS1_6TensorEENKUlvE_clEvENKUlvE0_clEvEUllE_EEvT_T0_PN15function_traitsISD_E11result_typeE.num_vgpr, 24
	.set _ZN12_GLOBAL__N_141elementwise_kernel_with_index_grid_strideIiZZZN2at6native15arange_cuda_outERKN3c106ScalarES6_S6_RNS1_6TensorEENKUlvE_clEvENKUlvE0_clEvEUllE_EEvT_T0_PN15function_traitsISD_E11result_typeE.num_agpr, 0
	.set _ZN12_GLOBAL__N_141elementwise_kernel_with_index_grid_strideIiZZZN2at6native15arange_cuda_outERKN3c106ScalarES6_S6_RNS1_6TensorEENKUlvE_clEvENKUlvE0_clEvEUllE_EEvT_T0_PN15function_traitsISD_E11result_typeE.numbered_sgpr, 22
	.set _ZN12_GLOBAL__N_141elementwise_kernel_with_index_grid_strideIiZZZN2at6native15arange_cuda_outERKN3c106ScalarES6_S6_RNS1_6TensorEENKUlvE_clEvENKUlvE0_clEvEUllE_EEvT_T0_PN15function_traitsISD_E11result_typeE.num_named_barrier, 0
	.set _ZN12_GLOBAL__N_141elementwise_kernel_with_index_grid_strideIiZZZN2at6native15arange_cuda_outERKN3c106ScalarES6_S6_RNS1_6TensorEENKUlvE_clEvENKUlvE0_clEvEUllE_EEvT_T0_PN15function_traitsISD_E11result_typeE.private_seg_size, 0
	.set _ZN12_GLOBAL__N_141elementwise_kernel_with_index_grid_strideIiZZZN2at6native15arange_cuda_outERKN3c106ScalarES6_S6_RNS1_6TensorEENKUlvE_clEvENKUlvE0_clEvEUllE_EEvT_T0_PN15function_traitsISD_E11result_typeE.uses_vcc, 1
	.set _ZN12_GLOBAL__N_141elementwise_kernel_with_index_grid_strideIiZZZN2at6native15arange_cuda_outERKN3c106ScalarES6_S6_RNS1_6TensorEENKUlvE_clEvENKUlvE0_clEvEUllE_EEvT_T0_PN15function_traitsISD_E11result_typeE.uses_flat_scratch, 0
	.set _ZN12_GLOBAL__N_141elementwise_kernel_with_index_grid_strideIiZZZN2at6native15arange_cuda_outERKN3c106ScalarES6_S6_RNS1_6TensorEENKUlvE_clEvENKUlvE0_clEvEUllE_EEvT_T0_PN15function_traitsISD_E11result_typeE.has_dyn_sized_stack, 0
	.set _ZN12_GLOBAL__N_141elementwise_kernel_with_index_grid_strideIiZZZN2at6native15arange_cuda_outERKN3c106ScalarES6_S6_RNS1_6TensorEENKUlvE_clEvENKUlvE0_clEvEUllE_EEvT_T0_PN15function_traitsISD_E11result_typeE.has_recursion, 0
	.set _ZN12_GLOBAL__N_141elementwise_kernel_with_index_grid_strideIiZZZN2at6native15arange_cuda_outERKN3c106ScalarES6_S6_RNS1_6TensorEENKUlvE_clEvENKUlvE0_clEvEUllE_EEvT_T0_PN15function_traitsISD_E11result_typeE.has_indirect_call, 0
	.section	.AMDGPU.csdata,"",@progbits
; Kernel info:
; codeLenInByte = 752
; TotalNumSgprs: 26
; NumVgprs: 24
; ScratchSize: 0
; MemoryBound: 0
; FloatMode: 240
; IeeeMode: 1
; LDSByteSize: 0 bytes/workgroup (compile time only)
; SGPRBlocks: 3
; VGPRBlocks: 5
; NumSGPRsForWavesPerEU: 26
; NumVGPRsForWavesPerEU: 24
; Occupancy: 10
; WaveLimiterHint : 0
; COMPUTE_PGM_RSRC2:SCRATCH_EN: 0
; COMPUTE_PGM_RSRC2:USER_SGPR: 6
; COMPUTE_PGM_RSRC2:TRAP_HANDLER: 0
; COMPUTE_PGM_RSRC2:TGID_X_EN: 1
; COMPUTE_PGM_RSRC2:TGID_Y_EN: 0
; COMPUTE_PGM_RSRC2:TGID_Z_EN: 0
; COMPUTE_PGM_RSRC2:TIDIG_COMP_CNT: 0
	.section	.text._ZN12_GLOBAL__N_141elementwise_kernel_with_index_grid_strideIlZZZN2at6native15arange_cuda_outERKN3c106ScalarES6_S6_RNS1_6TensorEENKUlvE_clEvENKUlvE0_clEvEUllE_EEvT_T0_PN15function_traitsISD_E11result_typeE,"axG",@progbits,_ZN12_GLOBAL__N_141elementwise_kernel_with_index_grid_strideIlZZZN2at6native15arange_cuda_outERKN3c106ScalarES6_S6_RNS1_6TensorEENKUlvE_clEvENKUlvE0_clEvEUllE_EEvT_T0_PN15function_traitsISD_E11result_typeE,comdat
	.globl	_ZN12_GLOBAL__N_141elementwise_kernel_with_index_grid_strideIlZZZN2at6native15arange_cuda_outERKN3c106ScalarES6_S6_RNS1_6TensorEENKUlvE_clEvENKUlvE0_clEvEUllE_EEvT_T0_PN15function_traitsISD_E11result_typeE ; -- Begin function _ZN12_GLOBAL__N_141elementwise_kernel_with_index_grid_strideIlZZZN2at6native15arange_cuda_outERKN3c106ScalarES6_S6_RNS1_6TensorEENKUlvE_clEvENKUlvE0_clEvEUllE_EEvT_T0_PN15function_traitsISD_E11result_typeE
	.p2align	8
	.type	_ZN12_GLOBAL__N_141elementwise_kernel_with_index_grid_strideIlZZZN2at6native15arange_cuda_outERKN3c106ScalarES6_S6_RNS1_6TensorEENKUlvE_clEvENKUlvE0_clEvEUllE_EEvT_T0_PN15function_traitsISD_E11result_typeE,@function
_ZN12_GLOBAL__N_141elementwise_kernel_with_index_grid_strideIlZZZN2at6native15arange_cuda_outERKN3c106ScalarES6_S6_RNS1_6TensorEENKUlvE_clEvENKUlvE0_clEvEUllE_EEvT_T0_PN15function_traitsISD_E11result_typeE: ; @_ZN12_GLOBAL__N_141elementwise_kernel_with_index_grid_strideIlZZZN2at6native15arange_cuda_outERKN3c106ScalarES6_S6_RNS1_6TensorEENKUlvE_clEvENKUlvE0_clEvEUllE_EEvT_T0_PN15function_traitsISD_E11result_typeE
; %bb.0:
	s_load_dword s2, s[4:5], 0x2c
	s_load_dwordx8 s[8:15], s[4:5], 0x0
	s_add_u32 s0, s4, 32
	s_addc_u32 s1, s5, 0
	v_mov_b32_e32 v3, 0
	s_waitcnt lgkmcnt(0)
	s_and_b32 s20, s2, 0xffff
	s_mul_hi_u32 s21, s20, s6
	s_mul_i32 s22, s20, s6
	v_mov_b32_e32 v2, s21
	v_add_co_u32_e32 v1, vcc, s22, v0
	v_addc_co_u32_e32 v2, vcc, 0, v2, vcc
	v_cmp_gt_i64_e32 vcc, s[8:9], v[1:2]
	s_and_saveexec_b64 s[2:3], vcc
	s_cbranch_execz .LBB65_12
; %bb.1:
	s_load_dword s4, s[0:1], 0x0
	v_mov_b32_e32 v5, s8
	s_mov_b32 s5, 0
	s_waitcnt lgkmcnt(0)
	s_add_u32 s0, s6, s4
	s_addc_u32 s1, 0, 0
	s_mul_hi_u32 s2, s0, s20
	s_mul_i32 s1, s1, s20
	s_mul_i32 s23, s0, s20
	s_add_i32 s24, s2, s1
	v_mov_b32_e32 v4, s24
	v_add_co_u32_e32 v6, vcc, s23, v0
	v_addc_co_u32_e32 v7, vcc, 0, v4, vcc
	v_cmp_gt_i64_e32 vcc, s[8:9], v[6:7]
	v_mov_b32_e32 v4, s9
	v_cndmask_b32_e32 v8, v6, v5, vcc
	v_cndmask_b32_e64 v5, 0, 1, vcc
	v_cndmask_b32_e32 v4, v7, v4, vcc
	v_add_co_u32_e32 v6, vcc, v6, v5
	v_addc_co_u32_e32 v7, vcc, 0, v7, vcc
	v_sub_co_u32_e32 v6, vcc, v8, v6
	s_mul_hi_u32 s3, s20, s4
	v_subb_co_u32_e32 v7, vcc, v4, v7, vcc
	v_or_b32_e32 v4, s3, v7
	v_cmp_ne_u64_e32 vcc, 0, v[3:4]
	s_mul_i32 s2, s20, s4
                                        ; implicit-def: $vgpr3_vgpr4
	s_and_saveexec_b64 s[0:1], vcc
	s_xor_b64 s[16:17], exec, s[0:1]
	s_cbranch_execz .LBB65_3
; %bb.2:
	v_cvt_f32_u32_e32 v3, s2
	v_cvt_f32_u32_e32 v4, s3
	s_sub_u32 s7, 0, s2
	s_subb_u32 s18, 0, s3
	v_madmk_f32 v3, v4, 0x4f800000, v3
	v_rcp_f32_e32 v3, v3
	v_mul_f32_e32 v3, 0x5f7ffffc, v3
	v_mul_f32_e32 v4, 0x2f800000, v3
	v_trunc_f32_e32 v4, v4
	v_madmk_f32 v3, v4, 0xcf800000, v3
	v_cvt_u32_f32_e32 v4, v4
	v_cvt_u32_f32_e32 v3, v3
	v_readfirstlane_b32 s19, v4
	v_readfirstlane_b32 s0, v3
	s_mul_i32 s1, s7, s19
	s_mul_hi_u32 s26, s7, s0
	s_mul_i32 s25, s18, s0
	s_add_i32 s1, s26, s1
	s_mul_i32 s27, s7, s0
	s_add_i32 s1, s1, s25
	s_mul_i32 s26, s0, s1
	s_mul_hi_u32 s28, s0, s27
	s_mul_hi_u32 s25, s0, s1
	s_add_u32 s26, s28, s26
	s_addc_u32 s25, 0, s25
	s_mul_hi_u32 s29, s19, s27
	s_mul_i32 s27, s19, s27
	s_add_u32 s26, s26, s27
	s_mul_hi_u32 s28, s19, s1
	s_addc_u32 s25, s25, s29
	s_addc_u32 s26, s28, 0
	s_mul_i32 s1, s19, s1
	s_add_u32 s1, s25, s1
	s_addc_u32 s25, 0, s26
	s_add_u32 s26, s0, s1
	s_cselect_b64 s[0:1], -1, 0
	s_cmp_lg_u64 s[0:1], 0
	s_addc_u32 s19, s19, s25
	s_mul_i32 s0, s7, s19
	s_mul_hi_u32 s1, s7, s26
	s_add_i32 s0, s1, s0
	s_mul_i32 s18, s18, s26
	s_add_i32 s0, s0, s18
	s_mul_i32 s7, s7, s26
	s_mul_hi_u32 s18, s19, s7
	s_mul_i32 s25, s19, s7
	s_mul_i32 s28, s26, s0
	s_mul_hi_u32 s7, s26, s7
	s_mul_hi_u32 s27, s26, s0
	s_add_u32 s7, s7, s28
	s_addc_u32 s27, 0, s27
	s_add_u32 s7, s7, s25
	s_mul_hi_u32 s1, s19, s0
	s_addc_u32 s7, s27, s18
	s_addc_u32 s1, s1, 0
	s_mul_i32 s0, s19, s0
	s_add_u32 s0, s7, s0
	s_addc_u32 s7, 0, s1
	s_add_u32 s18, s26, s0
	s_cselect_b64 s[0:1], -1, 0
	s_cmp_lg_u64 s[0:1], 0
	s_addc_u32 s7, s19, s7
	v_mad_u64_u32 v[3:4], s[0:1], v6, s7, 0
	v_mul_hi_u32 v8, v6, s18
	v_add_co_u32_e32 v10, vcc, v8, v3
	v_addc_co_u32_e32 v11, vcc, 0, v4, vcc
	v_mad_u64_u32 v[3:4], s[0:1], v7, s18, 0
	v_mad_u64_u32 v[8:9], s[0:1], v7, s7, 0
	v_add_co_u32_e32 v3, vcc, v10, v3
	v_addc_co_u32_e32 v3, vcc, v11, v4, vcc
	v_addc_co_u32_e32 v4, vcc, 0, v9, vcc
	v_add_co_u32_e32 v8, vcc, v3, v8
	v_addc_co_u32_e32 v9, vcc, 0, v4, vcc
	v_mul_lo_u32 v10, s3, v8
	v_mul_lo_u32 v11, s2, v9
	v_mad_u64_u32 v[3:4], s[0:1], s2, v8, 0
	v_add3_u32 v4, v4, v11, v10
	v_sub_u32_e32 v10, v7, v4
	v_mov_b32_e32 v11, s3
	v_sub_co_u32_e32 v3, vcc, v6, v3
	v_subb_co_u32_e64 v6, s[0:1], v10, v11, vcc
	v_subrev_co_u32_e64 v10, s[0:1], s2, v3
	v_subbrev_co_u32_e64 v6, s[0:1], 0, v6, s[0:1]
	v_cmp_le_u32_e64 s[0:1], s3, v6
	v_cndmask_b32_e64 v11, 0, -1, s[0:1]
	v_cmp_le_u32_e64 s[0:1], s2, v10
	v_cndmask_b32_e64 v10, 0, -1, s[0:1]
	v_cmp_eq_u32_e64 s[0:1], s3, v6
	v_cndmask_b32_e64 v6, v11, v10, s[0:1]
	v_add_co_u32_e64 v10, s[0:1], 2, v8
	v_subb_co_u32_e32 v4, vcc, v7, v4, vcc
	v_addc_co_u32_e64 v11, s[0:1], 0, v9, s[0:1]
	v_cmp_le_u32_e32 vcc, s3, v4
	v_add_co_u32_e64 v12, s[0:1], 1, v8
	v_cndmask_b32_e64 v7, 0, -1, vcc
	v_cmp_le_u32_e32 vcc, s2, v3
	v_addc_co_u32_e64 v13, s[0:1], 0, v9, s[0:1]
	v_cndmask_b32_e64 v3, 0, -1, vcc
	v_cmp_eq_u32_e32 vcc, s3, v4
	v_cmp_ne_u32_e64 s[0:1], 0, v6
	v_cndmask_b32_e32 v3, v7, v3, vcc
	v_cndmask_b32_e64 v6, v13, v11, s[0:1]
	v_cmp_ne_u32_e32 vcc, 0, v3
	v_cndmask_b32_e64 v3, v12, v10, s[0:1]
	v_cndmask_b32_e32 v4, v9, v6, vcc
	v_cndmask_b32_e32 v3, v8, v3, vcc
                                        ; implicit-def: $vgpr6
.LBB65_3:
	s_andn2_saveexec_b64 s[0:1], s[16:17]
	s_cbranch_execz .LBB65_5
; %bb.4:
	v_cvt_f32_u32_e32 v3, s2
	s_sub_i32 s7, 0, s2
	v_rcp_iflag_f32_e32 v3, v3
	v_mul_f32_e32 v3, 0x4f7ffffe, v3
	v_cvt_u32_f32_e32 v3, v3
	v_mul_lo_u32 v4, s7, v3
	v_mul_hi_u32 v4, v3, v4
	v_add_u32_e32 v3, v3, v4
	v_mul_hi_u32 v3, v6, v3
	v_mul_lo_u32 v4, v3, s2
	v_add_u32_e32 v7, 1, v3
	v_sub_u32_e32 v4, v6, v4
	v_subrev_u32_e32 v6, s2, v4
	v_cmp_le_u32_e32 vcc, s2, v4
	v_cndmask_b32_e32 v4, v4, v6, vcc
	v_cndmask_b32_e32 v3, v3, v7, vcc
	v_add_u32_e32 v6, 1, v3
	v_cmp_le_u32_e32 vcc, s2, v4
	v_cndmask_b32_e32 v3, v3, v6, vcc
	v_mov_b32_e32 v4, 0
.LBB65_5:
	s_or_b64 exec, exec, s[0:1]
	v_add_co_u32_e32 v3, vcc, v3, v5
	v_addc_co_u32_e32 v4, vcc, 0, v4, vcc
	v_add_co_u32_e32 v11, vcc, 1, v3
	v_addc_co_u32_e32 v12, vcc, 0, v4, vcc
	v_cmp_lt_u64_e32 vcc, 3, v[11:12]
	s_mov_b64 s[0:1], -1
	s_and_saveexec_b64 s[16:17], vcc
	s_cbranch_execz .LBB65_9
; %bb.6:
	v_mad_u64_u32 v[7:8], s[0:1], s2, 3, v[1:2]
	v_mad_u64_u32 v[5:6], s[0:1], s2, 2, v[1:2]
	;; [unrolled: 1-line block ×4, first 2 shown]
	s_lshl_b64 s[18:19], s[2:3], 2
	s_mul_i32 s1, s4, 3
	s_mul_hi_u32 s0, s4, 3
	s_add_u32 s1, s1, s6
	s_addc_u32 s0, s0, 0
	s_mul_i32 s0, s0, s20
	s_mul_hi_u32 s7, s1, s20
	s_add_i32 s44, s7, s0
	s_mul_i32 s45, s1, s20
	s_lshl_b64 s[0:1], s[4:5], 1
	s_add_u32 s0, s0, s6
	v_mov_b32_e32 v14, v12
	v_lshl_add_u32 v6, s3, 1, v6
	v_add_u32_e32 v4, s3, v4
	v_mov_b32_e32 v9, s15
	v_add_co_u32_e32 v0, vcc, s14, v0
	s_addc_u32 s1, s1, 0
	v_and_b32_e32 v13, -4, v11
	v_addc_co_u32_e32 v17, vcc, 0, v9, vcc
	s_mul_i32 s1, s1, s20
	s_mul_hi_u32 s5, s0, s20
	v_mov_b32_e32 v16, v14
	v_mov_b32_e32 v10, v8
	s_mov_b32 s25, s12
	s_mov_b32 s26, s12
	s_mov_b32 s27, s12
	s_mov_b32 s28, s12
	s_mov_b32 s29, s10
	s_mov_b32 s30, s11
	s_mov_b32 s31, s10
	s_mov_b32 s33, s11
	s_mov_b32 s34, s10
	s_mov_b32 s35, s11
	s_mov_b32 s36, s10
	s_mov_b32 s37, s11
	s_mov_b32 s38, s18
	s_mov_b32 s39, s19
	s_mov_b32 s40, s18
	s_mov_b32 s41, s19
	s_mov_b32 s42, s18
	s_mov_b32 s43, s19
	s_add_i32 s5, s5, s1
	s_mul_i32 s46, s0, s20
	s_mov_b64 s[6:7], 0
	v_mov_b32_e32 v15, v13
	v_mov_b32_e32 v9, v7
	;; [unrolled: 1-line block ×8, first 2 shown]
.LBB65_7:                               ; =>This Inner Loop Header: Depth=1
	v_mov_b32_e32 v18, s31
	v_mov_b32_e32 v19, s33
	v_mad_u64_u32 v[18:19], s[0:1], v5, s26, v[18:19]
	v_mov_b32_e32 v19, s30
	v_lshlrev_b16_e32 v20, 8, v18
	v_mov_b32_e32 v18, s29
	v_mad_u64_u32 v[18:19], s[0:1], v3, s25, v[18:19]
	v_mov_b32_e32 v19, s21
	v_or_b32_sdwa v20, v18, v20 dst_sel:DWORD dst_unused:UNUSED_PAD src0_sel:BYTE_0 src1_sel:DWORD
	v_add_co_u32_e32 v18, vcc, s22, v0
	v_addc_co_u32_e32 v19, vcc, v17, v19, vcc
	v_and_b32_e32 v20, 0xffff, v20
	global_store_byte v[18:19], v20, off
	v_mov_b32_e32 v19, s24
	v_add_co_u32_e32 v18, vcc, s23, v0
	v_addc_co_u32_e32 v19, vcc, v17, v19, vcc
	v_lshrrev_b32_e32 v20, 8, v20
	global_store_byte v[18:19], v20, off
	v_mov_b32_e32 v18, s36
	v_mov_b32_e32 v19, s37
	v_mad_u64_u32 v[18:19], s[0:1], v9, s28, v[18:19]
	v_mov_b32_e32 v19, s35
	v_lshlrev_b16_e32 v20, 8, v18
	v_mov_b32_e32 v18, s34
	v_mad_u64_u32 v[18:19], s[0:1], v7, s27, v[18:19]
	v_mov_b32_e32 v19, s5
	v_add_co_u32_e64 v3, s[0:1], s18, v3
	v_or_b32_sdwa v20, v18, v20 dst_sel:DWORD dst_unused:UNUSED_PAD src0_sel:BYTE_0 src1_sel:DWORD
	v_add_co_u32_e32 v18, vcc, s46, v0
	v_addc_co_u32_e32 v19, vcc, v17, v19, vcc
	global_store_byte v[18:19], v20, off
	v_mov_b32_e32 v19, s44
	v_add_co_u32_e32 v18, vcc, s45, v0
	v_addc_co_u32_e32 v19, vcc, v17, v19, vcc
	v_lshrrev_b32_e32 v20, 8, v20
	global_store_byte v[18:19], v20, off
	v_mov_b32_e32 v18, s19
	v_add_co_u32_e32 v0, vcc, s18, v0
	v_addc_co_u32_e32 v17, vcc, v17, v18, vcc
	v_mov_b32_e32 v18, s43
	v_add_co_u32_e32 v9, vcc, s42, v9
	v_addc_co_u32_e32 v10, vcc, v10, v18, vcc
	;; [unrolled: 3-line block ×4, first 2 shown]
	v_add_co_u32_e32 v15, vcc, -4, v15
	v_addc_co_u32_e32 v16, vcc, -1, v16, vcc
	v_cmp_eq_u64_e32 vcc, 0, v[15:16]
	v_mov_b32_e32 v18, s19
	s_or_b64 s[6:7], vcc, s[6:7]
	v_addc_co_u32_e64 v4, vcc, v4, v18, s[0:1]
	s_andn2_b64 exec, exec, s[6:7]
	s_cbranch_execnz .LBB65_7
; %bb.8:
	s_or_b64 exec, exec, s[6:7]
	v_mad_u64_u32 v[1:2], s[0:1], v13, s2, v[1:2]
	v_mul_lo_u32 v0, v13, s3
	v_mul_lo_u32 v3, v14, s2
	v_cmp_ne_u64_e32 vcc, v[11:12], v[13:14]
	s_orn2_b64 s[0:1], vcc, exec
	v_add3_u32 v2, v3, v2, v0
.LBB65_9:
	s_or_b64 exec, exec, s[16:17]
	s_and_b64 exec, exec, s[0:1]
	s_cbranch_execz .LBB65_12
; %bb.10:
	v_mov_b32_e32 v3, s10
	v_mov_b32_e32 v4, s11
	v_mad_u64_u32 v[3:4], s[0:1], v1, s12, v[3:4]
	v_mul_lo_u32 v0, v1, s13
	v_mul_lo_u32 v5, v2, s12
	s_mul_i32 s0, s13, s20
	s_mul_hi_u32 s1, s12, s20
	s_add_i32 s0, s1, s0
	s_mul_i32 s1, s12, s20
	s_mul_i32 s0, s0, s4
	s_mul_hi_u32 s5, s1, s4
	s_add_i32 s0, s5, s0
	v_add3_u32 v4, v5, v4, v0
	s_mul_i32 s6, s1, s4
	s_mov_b64 s[4:5], 0
	v_mov_b32_e32 v0, s15
	v_mov_b32_e32 v5, s3
	;; [unrolled: 1-line block ×3, first 2 shown]
.LBB65_11:                              ; =>This Inner Loop Header: Depth=1
	v_add_co_u32_e32 v7, vcc, s14, v1
	v_addc_co_u32_e32 v8, vcc, v0, v2, vcc
	v_add_co_u32_e32 v1, vcc, s2, v1
	v_addc_co_u32_e32 v2, vcc, v2, v5, vcc
	v_cmp_le_i64_e32 vcc, s[8:9], v[1:2]
	global_store_byte v[7:8], v3, off
	v_add_co_u32_e64 v3, s[0:1], s6, v3
	s_or_b64 s[4:5], vcc, s[4:5]
	v_addc_co_u32_e64 v4, vcc, v4, v6, s[0:1]
	s_andn2_b64 exec, exec, s[4:5]
	s_cbranch_execnz .LBB65_11
.LBB65_12:
	s_endpgm
	.section	.rodata,"a",@progbits
	.p2align	6, 0x0
	.amdhsa_kernel _ZN12_GLOBAL__N_141elementwise_kernel_with_index_grid_strideIlZZZN2at6native15arange_cuda_outERKN3c106ScalarES6_S6_RNS1_6TensorEENKUlvE_clEvENKUlvE0_clEvEUllE_EEvT_T0_PN15function_traitsISD_E11result_typeE
		.amdhsa_group_segment_fixed_size 0
		.amdhsa_private_segment_fixed_size 0
		.amdhsa_kernarg_size 288
		.amdhsa_user_sgpr_count 6
		.amdhsa_user_sgpr_private_segment_buffer 1
		.amdhsa_user_sgpr_dispatch_ptr 0
		.amdhsa_user_sgpr_queue_ptr 0
		.amdhsa_user_sgpr_kernarg_segment_ptr 1
		.amdhsa_user_sgpr_dispatch_id 0
		.amdhsa_user_sgpr_flat_scratch_init 0
		.amdhsa_user_sgpr_private_segment_size 0
		.amdhsa_uses_dynamic_stack 0
		.amdhsa_system_sgpr_private_segment_wavefront_offset 0
		.amdhsa_system_sgpr_workgroup_id_x 1
		.amdhsa_system_sgpr_workgroup_id_y 0
		.amdhsa_system_sgpr_workgroup_id_z 0
		.amdhsa_system_sgpr_workgroup_info 0
		.amdhsa_system_vgpr_workitem_id 0
		.amdhsa_next_free_vgpr 21
		.amdhsa_next_free_sgpr 47
		.amdhsa_reserve_vcc 1
		.amdhsa_reserve_flat_scratch 0
		.amdhsa_float_round_mode_32 0
		.amdhsa_float_round_mode_16_64 0
		.amdhsa_float_denorm_mode_32 3
		.amdhsa_float_denorm_mode_16_64 3
		.amdhsa_dx10_clamp 1
		.amdhsa_ieee_mode 1
		.amdhsa_fp16_overflow 0
		.amdhsa_exception_fp_ieee_invalid_op 0
		.amdhsa_exception_fp_denorm_src 0
		.amdhsa_exception_fp_ieee_div_zero 0
		.amdhsa_exception_fp_ieee_overflow 0
		.amdhsa_exception_fp_ieee_underflow 0
		.amdhsa_exception_fp_ieee_inexact 0
		.amdhsa_exception_int_div_zero 0
	.end_amdhsa_kernel
	.section	.text._ZN12_GLOBAL__N_141elementwise_kernel_with_index_grid_strideIlZZZN2at6native15arange_cuda_outERKN3c106ScalarES6_S6_RNS1_6TensorEENKUlvE_clEvENKUlvE0_clEvEUllE_EEvT_T0_PN15function_traitsISD_E11result_typeE,"axG",@progbits,_ZN12_GLOBAL__N_141elementwise_kernel_with_index_grid_strideIlZZZN2at6native15arange_cuda_outERKN3c106ScalarES6_S6_RNS1_6TensorEENKUlvE_clEvENKUlvE0_clEvEUllE_EEvT_T0_PN15function_traitsISD_E11result_typeE,comdat
.Lfunc_end65:
	.size	_ZN12_GLOBAL__N_141elementwise_kernel_with_index_grid_strideIlZZZN2at6native15arange_cuda_outERKN3c106ScalarES6_S6_RNS1_6TensorEENKUlvE_clEvENKUlvE0_clEvEUllE_EEvT_T0_PN15function_traitsISD_E11result_typeE, .Lfunc_end65-_ZN12_GLOBAL__N_141elementwise_kernel_with_index_grid_strideIlZZZN2at6native15arange_cuda_outERKN3c106ScalarES6_S6_RNS1_6TensorEENKUlvE_clEvENKUlvE0_clEvEUllE_EEvT_T0_PN15function_traitsISD_E11result_typeE
                                        ; -- End function
	.set _ZN12_GLOBAL__N_141elementwise_kernel_with_index_grid_strideIlZZZN2at6native15arange_cuda_outERKN3c106ScalarES6_S6_RNS1_6TensorEENKUlvE_clEvENKUlvE0_clEvEUllE_EEvT_T0_PN15function_traitsISD_E11result_typeE.num_vgpr, 21
	.set _ZN12_GLOBAL__N_141elementwise_kernel_with_index_grid_strideIlZZZN2at6native15arange_cuda_outERKN3c106ScalarES6_S6_RNS1_6TensorEENKUlvE_clEvENKUlvE0_clEvEUllE_EEvT_T0_PN15function_traitsISD_E11result_typeE.num_agpr, 0
	.set _ZN12_GLOBAL__N_141elementwise_kernel_with_index_grid_strideIlZZZN2at6native15arange_cuda_outERKN3c106ScalarES6_S6_RNS1_6TensorEENKUlvE_clEvENKUlvE0_clEvEUllE_EEvT_T0_PN15function_traitsISD_E11result_typeE.numbered_sgpr, 47
	.set _ZN12_GLOBAL__N_141elementwise_kernel_with_index_grid_strideIlZZZN2at6native15arange_cuda_outERKN3c106ScalarES6_S6_RNS1_6TensorEENKUlvE_clEvENKUlvE0_clEvEUllE_EEvT_T0_PN15function_traitsISD_E11result_typeE.num_named_barrier, 0
	.set _ZN12_GLOBAL__N_141elementwise_kernel_with_index_grid_strideIlZZZN2at6native15arange_cuda_outERKN3c106ScalarES6_S6_RNS1_6TensorEENKUlvE_clEvENKUlvE0_clEvEUllE_EEvT_T0_PN15function_traitsISD_E11result_typeE.private_seg_size, 0
	.set _ZN12_GLOBAL__N_141elementwise_kernel_with_index_grid_strideIlZZZN2at6native15arange_cuda_outERKN3c106ScalarES6_S6_RNS1_6TensorEENKUlvE_clEvENKUlvE0_clEvEUllE_EEvT_T0_PN15function_traitsISD_E11result_typeE.uses_vcc, 1
	.set _ZN12_GLOBAL__N_141elementwise_kernel_with_index_grid_strideIlZZZN2at6native15arange_cuda_outERKN3c106ScalarES6_S6_RNS1_6TensorEENKUlvE_clEvENKUlvE0_clEvEUllE_EEvT_T0_PN15function_traitsISD_E11result_typeE.uses_flat_scratch, 0
	.set _ZN12_GLOBAL__N_141elementwise_kernel_with_index_grid_strideIlZZZN2at6native15arange_cuda_outERKN3c106ScalarES6_S6_RNS1_6TensorEENKUlvE_clEvENKUlvE0_clEvEUllE_EEvT_T0_PN15function_traitsISD_E11result_typeE.has_dyn_sized_stack, 0
	.set _ZN12_GLOBAL__N_141elementwise_kernel_with_index_grid_strideIlZZZN2at6native15arange_cuda_outERKN3c106ScalarES6_S6_RNS1_6TensorEENKUlvE_clEvENKUlvE0_clEvEUllE_EEvT_T0_PN15function_traitsISD_E11result_typeE.has_recursion, 0
	.set _ZN12_GLOBAL__N_141elementwise_kernel_with_index_grid_strideIlZZZN2at6native15arange_cuda_outERKN3c106ScalarES6_S6_RNS1_6TensorEENKUlvE_clEvENKUlvE0_clEvEUllE_EEvT_T0_PN15function_traitsISD_E11result_typeE.has_indirect_call, 0
	.section	.AMDGPU.csdata,"",@progbits
; Kernel info:
; codeLenInByte = 1616
; TotalNumSgprs: 51
; NumVgprs: 21
; ScratchSize: 0
; MemoryBound: 0
; FloatMode: 240
; IeeeMode: 1
; LDSByteSize: 0 bytes/workgroup (compile time only)
; SGPRBlocks: 6
; VGPRBlocks: 5
; NumSGPRsForWavesPerEU: 51
; NumVGPRsForWavesPerEU: 21
; Occupancy: 10
; WaveLimiterHint : 0
; COMPUTE_PGM_RSRC2:SCRATCH_EN: 0
; COMPUTE_PGM_RSRC2:USER_SGPR: 6
; COMPUTE_PGM_RSRC2:TRAP_HANDLER: 0
; COMPUTE_PGM_RSRC2:TGID_X_EN: 1
; COMPUTE_PGM_RSRC2:TGID_Y_EN: 0
; COMPUTE_PGM_RSRC2:TGID_Z_EN: 0
; COMPUTE_PGM_RSRC2:TIDIG_COMP_CNT: 0
	.section	.text._ZN12_GLOBAL__N_141elementwise_kernel_with_index_grid_strideIiZZZN2at6native15arange_cuda_outERKN3c106ScalarES6_S6_RNS1_6TensorEENKUlvE_clEvENKUlvE1_clEvEUllE_EEvT_T0_PN15function_traitsISD_E11result_typeE,"axG",@progbits,_ZN12_GLOBAL__N_141elementwise_kernel_with_index_grid_strideIiZZZN2at6native15arange_cuda_outERKN3c106ScalarES6_S6_RNS1_6TensorEENKUlvE_clEvENKUlvE1_clEvEUllE_EEvT_T0_PN15function_traitsISD_E11result_typeE,comdat
	.globl	_ZN12_GLOBAL__N_141elementwise_kernel_with_index_grid_strideIiZZZN2at6native15arange_cuda_outERKN3c106ScalarES6_S6_RNS1_6TensorEENKUlvE_clEvENKUlvE1_clEvEUllE_EEvT_T0_PN15function_traitsISD_E11result_typeE ; -- Begin function _ZN12_GLOBAL__N_141elementwise_kernel_with_index_grid_strideIiZZZN2at6native15arange_cuda_outERKN3c106ScalarES6_S6_RNS1_6TensorEENKUlvE_clEvENKUlvE1_clEvEUllE_EEvT_T0_PN15function_traitsISD_E11result_typeE
	.p2align	8
	.type	_ZN12_GLOBAL__N_141elementwise_kernel_with_index_grid_strideIiZZZN2at6native15arange_cuda_outERKN3c106ScalarES6_S6_RNS1_6TensorEENKUlvE_clEvENKUlvE1_clEvEUllE_EEvT_T0_PN15function_traitsISD_E11result_typeE,@function
_ZN12_GLOBAL__N_141elementwise_kernel_with_index_grid_strideIiZZZN2at6native15arange_cuda_outERKN3c106ScalarES6_S6_RNS1_6TensorEENKUlvE_clEvENKUlvE1_clEvEUllE_EEvT_T0_PN15function_traitsISD_E11result_typeE: ; @_ZN12_GLOBAL__N_141elementwise_kernel_with_index_grid_strideIiZZZN2at6native15arange_cuda_outERKN3c106ScalarES6_S6_RNS1_6TensorEENKUlvE_clEvENKUlvE1_clEvEUllE_EEvT_T0_PN15function_traitsISD_E11result_typeE
; %bb.0:
	s_load_dword s2, s[4:5], 0x2c
	s_load_dword s7, s[4:5], 0x0
	s_add_u32 s0, s4, 32
	s_addc_u32 s1, s5, 0
	s_waitcnt lgkmcnt(0)
	s_and_b32 s2, s2, 0xffff
	s_mul_i32 s6, s6, s2
	v_add_u32_e32 v0, s6, v0
	v_cmp_gt_i32_e32 vcc, s7, v0
	s_and_saveexec_b64 s[8:9], vcc
	s_cbranch_execz .LBB66_3
; %bb.1:
	s_load_dword s3, s[0:1], 0x0
	s_load_dwordx2 s[12:13], s[4:5], 0x18
	s_load_dwordx4 s[8:11], s[4:5], 0x8
	v_ashrrev_i32_e32 v1, 31, v0
	v_lshlrev_b64 v[1:2], 2, v[0:1]
	s_waitcnt lgkmcnt(0)
	s_mul_i32 s0, s3, s2
	s_ashr_i32 s1, s0, 31
	v_mul_lo_u32 v4, v0, s10
	v_mov_b32_e32 v3, s13
	v_add_co_u32_e32 v1, vcc, s12, v1
	s_lshl_b64 s[2:3], s[0:1], 2
	v_addc_co_u32_e32 v2, vcc, v3, v2, vcc
	v_add_u32_e32 v3, s8, v4
	s_mul_i32 s1, s0, s10
	s_mov_b64 s[4:5], 0
	v_mov_b32_e32 v4, s3
.LBB66_2:                               ; =>This Inner Loop Header: Depth=1
	global_store_dword v[1:2], v3, off
	v_add_co_u32_e32 v1, vcc, s2, v1
	v_add_u32_e32 v0, s0, v0
	v_addc_co_u32_e32 v2, vcc, v2, v4, vcc
	v_cmp_le_i32_e32 vcc, s7, v0
	s_or_b64 s[4:5], vcc, s[4:5]
	v_add_u32_e32 v3, s1, v3
	s_andn2_b64 exec, exec, s[4:5]
	s_cbranch_execnz .LBB66_2
.LBB66_3:
	s_endpgm
	.section	.rodata,"a",@progbits
	.p2align	6, 0x0
	.amdhsa_kernel _ZN12_GLOBAL__N_141elementwise_kernel_with_index_grid_strideIiZZZN2at6native15arange_cuda_outERKN3c106ScalarES6_S6_RNS1_6TensorEENKUlvE_clEvENKUlvE1_clEvEUllE_EEvT_T0_PN15function_traitsISD_E11result_typeE
		.amdhsa_group_segment_fixed_size 0
		.amdhsa_private_segment_fixed_size 0
		.amdhsa_kernarg_size 288
		.amdhsa_user_sgpr_count 6
		.amdhsa_user_sgpr_private_segment_buffer 1
		.amdhsa_user_sgpr_dispatch_ptr 0
		.amdhsa_user_sgpr_queue_ptr 0
		.amdhsa_user_sgpr_kernarg_segment_ptr 1
		.amdhsa_user_sgpr_dispatch_id 0
		.amdhsa_user_sgpr_flat_scratch_init 0
		.amdhsa_user_sgpr_private_segment_size 0
		.amdhsa_uses_dynamic_stack 0
		.amdhsa_system_sgpr_private_segment_wavefront_offset 0
		.amdhsa_system_sgpr_workgroup_id_x 1
		.amdhsa_system_sgpr_workgroup_id_y 0
		.amdhsa_system_sgpr_workgroup_id_z 0
		.amdhsa_system_sgpr_workgroup_info 0
		.amdhsa_system_vgpr_workitem_id 0
		.amdhsa_next_free_vgpr 5
		.amdhsa_next_free_sgpr 14
		.amdhsa_reserve_vcc 1
		.amdhsa_reserve_flat_scratch 0
		.amdhsa_float_round_mode_32 0
		.amdhsa_float_round_mode_16_64 0
		.amdhsa_float_denorm_mode_32 3
		.amdhsa_float_denorm_mode_16_64 3
		.amdhsa_dx10_clamp 1
		.amdhsa_ieee_mode 1
		.amdhsa_fp16_overflow 0
		.amdhsa_exception_fp_ieee_invalid_op 0
		.amdhsa_exception_fp_denorm_src 0
		.amdhsa_exception_fp_ieee_div_zero 0
		.amdhsa_exception_fp_ieee_overflow 0
		.amdhsa_exception_fp_ieee_underflow 0
		.amdhsa_exception_fp_ieee_inexact 0
		.amdhsa_exception_int_div_zero 0
	.end_amdhsa_kernel
	.section	.text._ZN12_GLOBAL__N_141elementwise_kernel_with_index_grid_strideIiZZZN2at6native15arange_cuda_outERKN3c106ScalarES6_S6_RNS1_6TensorEENKUlvE_clEvENKUlvE1_clEvEUllE_EEvT_T0_PN15function_traitsISD_E11result_typeE,"axG",@progbits,_ZN12_GLOBAL__N_141elementwise_kernel_with_index_grid_strideIiZZZN2at6native15arange_cuda_outERKN3c106ScalarES6_S6_RNS1_6TensorEENKUlvE_clEvENKUlvE1_clEvEUllE_EEvT_T0_PN15function_traitsISD_E11result_typeE,comdat
.Lfunc_end66:
	.size	_ZN12_GLOBAL__N_141elementwise_kernel_with_index_grid_strideIiZZZN2at6native15arange_cuda_outERKN3c106ScalarES6_S6_RNS1_6TensorEENKUlvE_clEvENKUlvE1_clEvEUllE_EEvT_T0_PN15function_traitsISD_E11result_typeE, .Lfunc_end66-_ZN12_GLOBAL__N_141elementwise_kernel_with_index_grid_strideIiZZZN2at6native15arange_cuda_outERKN3c106ScalarES6_S6_RNS1_6TensorEENKUlvE_clEvENKUlvE1_clEvEUllE_EEvT_T0_PN15function_traitsISD_E11result_typeE
                                        ; -- End function
	.set _ZN12_GLOBAL__N_141elementwise_kernel_with_index_grid_strideIiZZZN2at6native15arange_cuda_outERKN3c106ScalarES6_S6_RNS1_6TensorEENKUlvE_clEvENKUlvE1_clEvEUllE_EEvT_T0_PN15function_traitsISD_E11result_typeE.num_vgpr, 5
	.set _ZN12_GLOBAL__N_141elementwise_kernel_with_index_grid_strideIiZZZN2at6native15arange_cuda_outERKN3c106ScalarES6_S6_RNS1_6TensorEENKUlvE_clEvENKUlvE1_clEvEUllE_EEvT_T0_PN15function_traitsISD_E11result_typeE.num_agpr, 0
	.set _ZN12_GLOBAL__N_141elementwise_kernel_with_index_grid_strideIiZZZN2at6native15arange_cuda_outERKN3c106ScalarES6_S6_RNS1_6TensorEENKUlvE_clEvENKUlvE1_clEvEUllE_EEvT_T0_PN15function_traitsISD_E11result_typeE.numbered_sgpr, 14
	.set _ZN12_GLOBAL__N_141elementwise_kernel_with_index_grid_strideIiZZZN2at6native15arange_cuda_outERKN3c106ScalarES6_S6_RNS1_6TensorEENKUlvE_clEvENKUlvE1_clEvEUllE_EEvT_T0_PN15function_traitsISD_E11result_typeE.num_named_barrier, 0
	.set _ZN12_GLOBAL__N_141elementwise_kernel_with_index_grid_strideIiZZZN2at6native15arange_cuda_outERKN3c106ScalarES6_S6_RNS1_6TensorEENKUlvE_clEvENKUlvE1_clEvEUllE_EEvT_T0_PN15function_traitsISD_E11result_typeE.private_seg_size, 0
	.set _ZN12_GLOBAL__N_141elementwise_kernel_with_index_grid_strideIiZZZN2at6native15arange_cuda_outERKN3c106ScalarES6_S6_RNS1_6TensorEENKUlvE_clEvENKUlvE1_clEvEUllE_EEvT_T0_PN15function_traitsISD_E11result_typeE.uses_vcc, 1
	.set _ZN12_GLOBAL__N_141elementwise_kernel_with_index_grid_strideIiZZZN2at6native15arange_cuda_outERKN3c106ScalarES6_S6_RNS1_6TensorEENKUlvE_clEvENKUlvE1_clEvEUllE_EEvT_T0_PN15function_traitsISD_E11result_typeE.uses_flat_scratch, 0
	.set _ZN12_GLOBAL__N_141elementwise_kernel_with_index_grid_strideIiZZZN2at6native15arange_cuda_outERKN3c106ScalarES6_S6_RNS1_6TensorEENKUlvE_clEvENKUlvE1_clEvEUllE_EEvT_T0_PN15function_traitsISD_E11result_typeE.has_dyn_sized_stack, 0
	.set _ZN12_GLOBAL__N_141elementwise_kernel_with_index_grid_strideIiZZZN2at6native15arange_cuda_outERKN3c106ScalarES6_S6_RNS1_6TensorEENKUlvE_clEvENKUlvE1_clEvEUllE_EEvT_T0_PN15function_traitsISD_E11result_typeE.has_recursion, 0
	.set _ZN12_GLOBAL__N_141elementwise_kernel_with_index_grid_strideIiZZZN2at6native15arange_cuda_outERKN3c106ScalarES6_S6_RNS1_6TensorEENKUlvE_clEvENKUlvE1_clEvEUllE_EEvT_T0_PN15function_traitsISD_E11result_typeE.has_indirect_call, 0
	.section	.AMDGPU.csdata,"",@progbits
; Kernel info:
; codeLenInByte = 188
; TotalNumSgprs: 18
; NumVgprs: 5
; ScratchSize: 0
; MemoryBound: 0
; FloatMode: 240
; IeeeMode: 1
; LDSByteSize: 0 bytes/workgroup (compile time only)
; SGPRBlocks: 2
; VGPRBlocks: 1
; NumSGPRsForWavesPerEU: 18
; NumVGPRsForWavesPerEU: 5
; Occupancy: 10
; WaveLimiterHint : 0
; COMPUTE_PGM_RSRC2:SCRATCH_EN: 0
; COMPUTE_PGM_RSRC2:USER_SGPR: 6
; COMPUTE_PGM_RSRC2:TRAP_HANDLER: 0
; COMPUTE_PGM_RSRC2:TGID_X_EN: 1
; COMPUTE_PGM_RSRC2:TGID_Y_EN: 0
; COMPUTE_PGM_RSRC2:TGID_Z_EN: 0
; COMPUTE_PGM_RSRC2:TIDIG_COMP_CNT: 0
	.section	.text._ZN12_GLOBAL__N_141elementwise_kernel_with_index_grid_strideIlZZZN2at6native15arange_cuda_outERKN3c106ScalarES6_S6_RNS1_6TensorEENKUlvE_clEvENKUlvE1_clEvEUllE_EEvT_T0_PN15function_traitsISD_E11result_typeE,"axG",@progbits,_ZN12_GLOBAL__N_141elementwise_kernel_with_index_grid_strideIlZZZN2at6native15arange_cuda_outERKN3c106ScalarES6_S6_RNS1_6TensorEENKUlvE_clEvENKUlvE1_clEvEUllE_EEvT_T0_PN15function_traitsISD_E11result_typeE,comdat
	.globl	_ZN12_GLOBAL__N_141elementwise_kernel_with_index_grid_strideIlZZZN2at6native15arange_cuda_outERKN3c106ScalarES6_S6_RNS1_6TensorEENKUlvE_clEvENKUlvE1_clEvEUllE_EEvT_T0_PN15function_traitsISD_E11result_typeE ; -- Begin function _ZN12_GLOBAL__N_141elementwise_kernel_with_index_grid_strideIlZZZN2at6native15arange_cuda_outERKN3c106ScalarES6_S6_RNS1_6TensorEENKUlvE_clEvENKUlvE1_clEvEUllE_EEvT_T0_PN15function_traitsISD_E11result_typeE
	.p2align	8
	.type	_ZN12_GLOBAL__N_141elementwise_kernel_with_index_grid_strideIlZZZN2at6native15arange_cuda_outERKN3c106ScalarES6_S6_RNS1_6TensorEENKUlvE_clEvENKUlvE1_clEvEUllE_EEvT_T0_PN15function_traitsISD_E11result_typeE,@function
_ZN12_GLOBAL__N_141elementwise_kernel_with_index_grid_strideIlZZZN2at6native15arange_cuda_outERKN3c106ScalarES6_S6_RNS1_6TensorEENKUlvE_clEvENKUlvE1_clEvEUllE_EEvT_T0_PN15function_traitsISD_E11result_typeE: ; @_ZN12_GLOBAL__N_141elementwise_kernel_with_index_grid_strideIlZZZN2at6native15arange_cuda_outERKN3c106ScalarES6_S6_RNS1_6TensorEENKUlvE_clEvENKUlvE1_clEvEUllE_EEvT_T0_PN15function_traitsISD_E11result_typeE
; %bb.0:
	s_load_dword s2, s[4:5], 0x2c
	s_load_dwordx8 s[8:15], s[4:5], 0x0
	s_add_u32 s0, s4, 32
	s_addc_u32 s1, s5, 0
	v_mov_b32_e32 v1, 0
	s_waitcnt lgkmcnt(0)
	s_and_b32 s2, s2, 0xffff
	v_mov_b32_e32 v2, s6
	v_mad_u64_u32 v[1:2], s[4:5], s2, v2, v[0:1]
	v_cmp_gt_i64_e32 vcc, s[8:9], v[1:2]
	s_and_saveexec_b64 s[4:5], vcc
	s_cbranch_execz .LBB67_3
; %bb.1:
	s_load_dword s0, s[0:1], 0x0
	s_mul_i32 s6, s6, s2
	v_add_u32_e32 v0, s6, v0
	v_mul_lo_u32 v0, v0, s12
	v_lshlrev_b64 v[3:4], 2, v[1:2]
	s_waitcnt lgkmcnt(0)
	s_mul_hi_u32 s3, s2, s0
	s_mul_i32 s2, s2, s0
	v_mov_b32_e32 v5, s15
	v_add_co_u32_e32 v3, vcc, s14, v3
	s_lshl_b64 s[4:5], s[2:3], 2
	v_add_u32_e32 v0, s10, v0
	s_mul_i32 s10, s2, s12
	v_addc_co_u32_e32 v4, vcc, v5, v4, vcc
	s_mov_b64 s[6:7], 0
	v_mov_b32_e32 v5, s3
	v_mov_b32_e32 v6, s5
.LBB67_2:                               ; =>This Inner Loop Header: Depth=1
	v_add_co_u32_e32 v1, vcc, s2, v1
	v_addc_co_u32_e32 v2, vcc, v2, v5, vcc
	v_cmp_le_i64_e64 s[0:1], s[8:9], v[1:2]
	global_store_dword v[3:4], v0, off
	v_add_co_u32_e32 v3, vcc, s4, v3
	v_add_u32_e32 v0, s10, v0
	s_or_b64 s[6:7], s[0:1], s[6:7]
	v_addc_co_u32_e32 v4, vcc, v4, v6, vcc
	s_andn2_b64 exec, exec, s[6:7]
	s_cbranch_execnz .LBB67_2
.LBB67_3:
	s_endpgm
	.section	.rodata,"a",@progbits
	.p2align	6, 0x0
	.amdhsa_kernel _ZN12_GLOBAL__N_141elementwise_kernel_with_index_grid_strideIlZZZN2at6native15arange_cuda_outERKN3c106ScalarES6_S6_RNS1_6TensorEENKUlvE_clEvENKUlvE1_clEvEUllE_EEvT_T0_PN15function_traitsISD_E11result_typeE
		.amdhsa_group_segment_fixed_size 0
		.amdhsa_private_segment_fixed_size 0
		.amdhsa_kernarg_size 288
		.amdhsa_user_sgpr_count 6
		.amdhsa_user_sgpr_private_segment_buffer 1
		.amdhsa_user_sgpr_dispatch_ptr 0
		.amdhsa_user_sgpr_queue_ptr 0
		.amdhsa_user_sgpr_kernarg_segment_ptr 1
		.amdhsa_user_sgpr_dispatch_id 0
		.amdhsa_user_sgpr_flat_scratch_init 0
		.amdhsa_user_sgpr_private_segment_size 0
		.amdhsa_uses_dynamic_stack 0
		.amdhsa_system_sgpr_private_segment_wavefront_offset 0
		.amdhsa_system_sgpr_workgroup_id_x 1
		.amdhsa_system_sgpr_workgroup_id_y 0
		.amdhsa_system_sgpr_workgroup_id_z 0
		.amdhsa_system_sgpr_workgroup_info 0
		.amdhsa_system_vgpr_workitem_id 0
		.amdhsa_next_free_vgpr 7
		.amdhsa_next_free_sgpr 16
		.amdhsa_reserve_vcc 1
		.amdhsa_reserve_flat_scratch 0
		.amdhsa_float_round_mode_32 0
		.amdhsa_float_round_mode_16_64 0
		.amdhsa_float_denorm_mode_32 3
		.amdhsa_float_denorm_mode_16_64 3
		.amdhsa_dx10_clamp 1
		.amdhsa_ieee_mode 1
		.amdhsa_fp16_overflow 0
		.amdhsa_exception_fp_ieee_invalid_op 0
		.amdhsa_exception_fp_denorm_src 0
		.amdhsa_exception_fp_ieee_div_zero 0
		.amdhsa_exception_fp_ieee_overflow 0
		.amdhsa_exception_fp_ieee_underflow 0
		.amdhsa_exception_fp_ieee_inexact 0
		.amdhsa_exception_int_div_zero 0
	.end_amdhsa_kernel
	.section	.text._ZN12_GLOBAL__N_141elementwise_kernel_with_index_grid_strideIlZZZN2at6native15arange_cuda_outERKN3c106ScalarES6_S6_RNS1_6TensorEENKUlvE_clEvENKUlvE1_clEvEUllE_EEvT_T0_PN15function_traitsISD_E11result_typeE,"axG",@progbits,_ZN12_GLOBAL__N_141elementwise_kernel_with_index_grid_strideIlZZZN2at6native15arange_cuda_outERKN3c106ScalarES6_S6_RNS1_6TensorEENKUlvE_clEvENKUlvE1_clEvEUllE_EEvT_T0_PN15function_traitsISD_E11result_typeE,comdat
.Lfunc_end67:
	.size	_ZN12_GLOBAL__N_141elementwise_kernel_with_index_grid_strideIlZZZN2at6native15arange_cuda_outERKN3c106ScalarES6_S6_RNS1_6TensorEENKUlvE_clEvENKUlvE1_clEvEUllE_EEvT_T0_PN15function_traitsISD_E11result_typeE, .Lfunc_end67-_ZN12_GLOBAL__N_141elementwise_kernel_with_index_grid_strideIlZZZN2at6native15arange_cuda_outERKN3c106ScalarES6_S6_RNS1_6TensorEENKUlvE_clEvENKUlvE1_clEvEUllE_EEvT_T0_PN15function_traitsISD_E11result_typeE
                                        ; -- End function
	.set _ZN12_GLOBAL__N_141elementwise_kernel_with_index_grid_strideIlZZZN2at6native15arange_cuda_outERKN3c106ScalarES6_S6_RNS1_6TensorEENKUlvE_clEvENKUlvE1_clEvEUllE_EEvT_T0_PN15function_traitsISD_E11result_typeE.num_vgpr, 7
	.set _ZN12_GLOBAL__N_141elementwise_kernel_with_index_grid_strideIlZZZN2at6native15arange_cuda_outERKN3c106ScalarES6_S6_RNS1_6TensorEENKUlvE_clEvENKUlvE1_clEvEUllE_EEvT_T0_PN15function_traitsISD_E11result_typeE.num_agpr, 0
	.set _ZN12_GLOBAL__N_141elementwise_kernel_with_index_grid_strideIlZZZN2at6native15arange_cuda_outERKN3c106ScalarES6_S6_RNS1_6TensorEENKUlvE_clEvENKUlvE1_clEvEUllE_EEvT_T0_PN15function_traitsISD_E11result_typeE.numbered_sgpr, 16
	.set _ZN12_GLOBAL__N_141elementwise_kernel_with_index_grid_strideIlZZZN2at6native15arange_cuda_outERKN3c106ScalarES6_S6_RNS1_6TensorEENKUlvE_clEvENKUlvE1_clEvEUllE_EEvT_T0_PN15function_traitsISD_E11result_typeE.num_named_barrier, 0
	.set _ZN12_GLOBAL__N_141elementwise_kernel_with_index_grid_strideIlZZZN2at6native15arange_cuda_outERKN3c106ScalarES6_S6_RNS1_6TensorEENKUlvE_clEvENKUlvE1_clEvEUllE_EEvT_T0_PN15function_traitsISD_E11result_typeE.private_seg_size, 0
	.set _ZN12_GLOBAL__N_141elementwise_kernel_with_index_grid_strideIlZZZN2at6native15arange_cuda_outERKN3c106ScalarES6_S6_RNS1_6TensorEENKUlvE_clEvENKUlvE1_clEvEUllE_EEvT_T0_PN15function_traitsISD_E11result_typeE.uses_vcc, 1
	.set _ZN12_GLOBAL__N_141elementwise_kernel_with_index_grid_strideIlZZZN2at6native15arange_cuda_outERKN3c106ScalarES6_S6_RNS1_6TensorEENKUlvE_clEvENKUlvE1_clEvEUllE_EEvT_T0_PN15function_traitsISD_E11result_typeE.uses_flat_scratch, 0
	.set _ZN12_GLOBAL__N_141elementwise_kernel_with_index_grid_strideIlZZZN2at6native15arange_cuda_outERKN3c106ScalarES6_S6_RNS1_6TensorEENKUlvE_clEvENKUlvE1_clEvEUllE_EEvT_T0_PN15function_traitsISD_E11result_typeE.has_dyn_sized_stack, 0
	.set _ZN12_GLOBAL__N_141elementwise_kernel_with_index_grid_strideIlZZZN2at6native15arange_cuda_outERKN3c106ScalarES6_S6_RNS1_6TensorEENKUlvE_clEvENKUlvE1_clEvEUllE_EEvT_T0_PN15function_traitsISD_E11result_typeE.has_recursion, 0
	.set _ZN12_GLOBAL__N_141elementwise_kernel_with_index_grid_strideIlZZZN2at6native15arange_cuda_outERKN3c106ScalarES6_S6_RNS1_6TensorEENKUlvE_clEvENKUlvE1_clEvEUllE_EEvT_T0_PN15function_traitsISD_E11result_typeE.has_indirect_call, 0
	.section	.AMDGPU.csdata,"",@progbits
; Kernel info:
; codeLenInByte = 196
; TotalNumSgprs: 20
; NumVgprs: 7
; ScratchSize: 0
; MemoryBound: 0
; FloatMode: 240
; IeeeMode: 1
; LDSByteSize: 0 bytes/workgroup (compile time only)
; SGPRBlocks: 2
; VGPRBlocks: 1
; NumSGPRsForWavesPerEU: 20
; NumVGPRsForWavesPerEU: 7
; Occupancy: 10
; WaveLimiterHint : 0
; COMPUTE_PGM_RSRC2:SCRATCH_EN: 0
; COMPUTE_PGM_RSRC2:USER_SGPR: 6
; COMPUTE_PGM_RSRC2:TRAP_HANDLER: 0
; COMPUTE_PGM_RSRC2:TGID_X_EN: 1
; COMPUTE_PGM_RSRC2:TGID_Y_EN: 0
; COMPUTE_PGM_RSRC2:TGID_Z_EN: 0
; COMPUTE_PGM_RSRC2:TIDIG_COMP_CNT: 0
	.section	.text._ZN12_GLOBAL__N_141elementwise_kernel_with_index_grid_strideIiZZZN2at6native15arange_cuda_outERKN3c106ScalarES6_S6_RNS1_6TensorEENKUlvE_clEvENKUlvE2_clEvEUllE_EEvT_T0_PN15function_traitsISD_E11result_typeE,"axG",@progbits,_ZN12_GLOBAL__N_141elementwise_kernel_with_index_grid_strideIiZZZN2at6native15arange_cuda_outERKN3c106ScalarES6_S6_RNS1_6TensorEENKUlvE_clEvENKUlvE2_clEvEUllE_EEvT_T0_PN15function_traitsISD_E11result_typeE,comdat
	.globl	_ZN12_GLOBAL__N_141elementwise_kernel_with_index_grid_strideIiZZZN2at6native15arange_cuda_outERKN3c106ScalarES6_S6_RNS1_6TensorEENKUlvE_clEvENKUlvE2_clEvEUllE_EEvT_T0_PN15function_traitsISD_E11result_typeE ; -- Begin function _ZN12_GLOBAL__N_141elementwise_kernel_with_index_grid_strideIiZZZN2at6native15arange_cuda_outERKN3c106ScalarES6_S6_RNS1_6TensorEENKUlvE_clEvENKUlvE2_clEvEUllE_EEvT_T0_PN15function_traitsISD_E11result_typeE
	.p2align	8
	.type	_ZN12_GLOBAL__N_141elementwise_kernel_with_index_grid_strideIiZZZN2at6native15arange_cuda_outERKN3c106ScalarES6_S6_RNS1_6TensorEENKUlvE_clEvENKUlvE2_clEvEUllE_EEvT_T0_PN15function_traitsISD_E11result_typeE,@function
_ZN12_GLOBAL__N_141elementwise_kernel_with_index_grid_strideIiZZZN2at6native15arange_cuda_outERKN3c106ScalarES6_S6_RNS1_6TensorEENKUlvE_clEvENKUlvE2_clEvEUllE_EEvT_T0_PN15function_traitsISD_E11result_typeE: ; @_ZN12_GLOBAL__N_141elementwise_kernel_with_index_grid_strideIiZZZN2at6native15arange_cuda_outERKN3c106ScalarES6_S6_RNS1_6TensorEENKUlvE_clEvENKUlvE2_clEvEUllE_EEvT_T0_PN15function_traitsISD_E11result_typeE
; %bb.0:
	s_load_dword s2, s[4:5], 0x2c
	s_load_dword s8, s[4:5], 0x0
	s_add_u32 s0, s4, 32
	s_addc_u32 s1, s5, 0
	s_waitcnt lgkmcnt(0)
	s_and_b32 s2, s2, 0xffff
	s_mul_i32 s6, s6, s2
	v_add_u32_e32 v0, s6, v0
	v_cmp_gt_i32_e32 vcc, s8, v0
	s_and_saveexec_b64 s[6:7], vcc
	s_cbranch_execz .LBB68_3
; %bb.1:
	s_load_dwordx4 s[12:15], s[4:5], 0x8
	s_load_dword s3, s[0:1], 0x0
	s_load_dwordx2 s[6:7], s[4:5], 0x18
	v_ashrrev_i32_e32 v1, 31, v0
	v_lshlrev_b64 v[4:5], 3, v[0:1]
	s_waitcnt lgkmcnt(0)
	v_mov_b32_e32 v2, s12
	v_mov_b32_e32 v3, s13
	s_mul_i32 s2, s3, s2
	v_mul_lo_u32 v7, s15, v0
	v_mul_lo_u32 v8, s14, v1
	v_mad_u64_u32 v[1:2], s[0:1], s14, v0, v[2:3]
	s_ashr_i32 s3, s2, 31
	s_mul_i32 s0, s14, s3
	s_mul_hi_u32 s1, s14, s2
	s_add_i32 s0, s1, s0
	s_mul_i32 s1, s15, s2
	v_mov_b32_e32 v6, s7
	v_add_co_u32_e32 v3, vcc, s6, v4
	s_lshl_b64 s[4:5], s[2:3], 3
	s_add_i32 s0, s0, s1
	v_addc_co_u32_e32 v4, vcc, v6, v5, vcc
	v_add3_u32 v2, v7, v2, v8
	s_mul_i32 s3, s14, s2
	s_mov_b64 s[6:7], 0
	v_mov_b32_e32 v5, s5
	v_mov_b32_e32 v6, s0
.LBB68_2:                               ; =>This Inner Loop Header: Depth=1
	global_store_dwordx2 v[3:4], v[1:2], off
	v_add_co_u32_e32 v3, vcc, s4, v3
	v_add_u32_e32 v0, s2, v0
	v_addc_co_u32_e32 v4, vcc, v4, v5, vcc
	v_add_co_u32_e32 v1, vcc, s3, v1
	v_cmp_le_i32_e64 s[0:1], s8, v0
	s_or_b64 s[6:7], s[0:1], s[6:7]
	v_addc_co_u32_e32 v2, vcc, v2, v6, vcc
	s_andn2_b64 exec, exec, s[6:7]
	s_cbranch_execnz .LBB68_2
.LBB68_3:
	s_endpgm
	.section	.rodata,"a",@progbits
	.p2align	6, 0x0
	.amdhsa_kernel _ZN12_GLOBAL__N_141elementwise_kernel_with_index_grid_strideIiZZZN2at6native15arange_cuda_outERKN3c106ScalarES6_S6_RNS1_6TensorEENKUlvE_clEvENKUlvE2_clEvEUllE_EEvT_T0_PN15function_traitsISD_E11result_typeE
		.amdhsa_group_segment_fixed_size 0
		.amdhsa_private_segment_fixed_size 0
		.amdhsa_kernarg_size 288
		.amdhsa_user_sgpr_count 6
		.amdhsa_user_sgpr_private_segment_buffer 1
		.amdhsa_user_sgpr_dispatch_ptr 0
		.amdhsa_user_sgpr_queue_ptr 0
		.amdhsa_user_sgpr_kernarg_segment_ptr 1
		.amdhsa_user_sgpr_dispatch_id 0
		.amdhsa_user_sgpr_flat_scratch_init 0
		.amdhsa_user_sgpr_private_segment_size 0
		.amdhsa_uses_dynamic_stack 0
		.amdhsa_system_sgpr_private_segment_wavefront_offset 0
		.amdhsa_system_sgpr_workgroup_id_x 1
		.amdhsa_system_sgpr_workgroup_id_y 0
		.amdhsa_system_sgpr_workgroup_id_z 0
		.amdhsa_system_sgpr_workgroup_info 0
		.amdhsa_system_vgpr_workitem_id 0
		.amdhsa_next_free_vgpr 9
		.amdhsa_next_free_sgpr 16
		.amdhsa_reserve_vcc 1
		.amdhsa_reserve_flat_scratch 0
		.amdhsa_float_round_mode_32 0
		.amdhsa_float_round_mode_16_64 0
		.amdhsa_float_denorm_mode_32 3
		.amdhsa_float_denorm_mode_16_64 3
		.amdhsa_dx10_clamp 1
		.amdhsa_ieee_mode 1
		.amdhsa_fp16_overflow 0
		.amdhsa_exception_fp_ieee_invalid_op 0
		.amdhsa_exception_fp_denorm_src 0
		.amdhsa_exception_fp_ieee_div_zero 0
		.amdhsa_exception_fp_ieee_overflow 0
		.amdhsa_exception_fp_ieee_underflow 0
		.amdhsa_exception_fp_ieee_inexact 0
		.amdhsa_exception_int_div_zero 0
	.end_amdhsa_kernel
	.section	.text._ZN12_GLOBAL__N_141elementwise_kernel_with_index_grid_strideIiZZZN2at6native15arange_cuda_outERKN3c106ScalarES6_S6_RNS1_6TensorEENKUlvE_clEvENKUlvE2_clEvEUllE_EEvT_T0_PN15function_traitsISD_E11result_typeE,"axG",@progbits,_ZN12_GLOBAL__N_141elementwise_kernel_with_index_grid_strideIiZZZN2at6native15arange_cuda_outERKN3c106ScalarES6_S6_RNS1_6TensorEENKUlvE_clEvENKUlvE2_clEvEUllE_EEvT_T0_PN15function_traitsISD_E11result_typeE,comdat
.Lfunc_end68:
	.size	_ZN12_GLOBAL__N_141elementwise_kernel_with_index_grid_strideIiZZZN2at6native15arange_cuda_outERKN3c106ScalarES6_S6_RNS1_6TensorEENKUlvE_clEvENKUlvE2_clEvEUllE_EEvT_T0_PN15function_traitsISD_E11result_typeE, .Lfunc_end68-_ZN12_GLOBAL__N_141elementwise_kernel_with_index_grid_strideIiZZZN2at6native15arange_cuda_outERKN3c106ScalarES6_S6_RNS1_6TensorEENKUlvE_clEvENKUlvE2_clEvEUllE_EEvT_T0_PN15function_traitsISD_E11result_typeE
                                        ; -- End function
	.set _ZN12_GLOBAL__N_141elementwise_kernel_with_index_grid_strideIiZZZN2at6native15arange_cuda_outERKN3c106ScalarES6_S6_RNS1_6TensorEENKUlvE_clEvENKUlvE2_clEvEUllE_EEvT_T0_PN15function_traitsISD_E11result_typeE.num_vgpr, 9
	.set _ZN12_GLOBAL__N_141elementwise_kernel_with_index_grid_strideIiZZZN2at6native15arange_cuda_outERKN3c106ScalarES6_S6_RNS1_6TensorEENKUlvE_clEvENKUlvE2_clEvEUllE_EEvT_T0_PN15function_traitsISD_E11result_typeE.num_agpr, 0
	.set _ZN12_GLOBAL__N_141elementwise_kernel_with_index_grid_strideIiZZZN2at6native15arange_cuda_outERKN3c106ScalarES6_S6_RNS1_6TensorEENKUlvE_clEvENKUlvE2_clEvEUllE_EEvT_T0_PN15function_traitsISD_E11result_typeE.numbered_sgpr, 16
	.set _ZN12_GLOBAL__N_141elementwise_kernel_with_index_grid_strideIiZZZN2at6native15arange_cuda_outERKN3c106ScalarES6_S6_RNS1_6TensorEENKUlvE_clEvENKUlvE2_clEvEUllE_EEvT_T0_PN15function_traitsISD_E11result_typeE.num_named_barrier, 0
	.set _ZN12_GLOBAL__N_141elementwise_kernel_with_index_grid_strideIiZZZN2at6native15arange_cuda_outERKN3c106ScalarES6_S6_RNS1_6TensorEENKUlvE_clEvENKUlvE2_clEvEUllE_EEvT_T0_PN15function_traitsISD_E11result_typeE.private_seg_size, 0
	.set _ZN12_GLOBAL__N_141elementwise_kernel_with_index_grid_strideIiZZZN2at6native15arange_cuda_outERKN3c106ScalarES6_S6_RNS1_6TensorEENKUlvE_clEvENKUlvE2_clEvEUllE_EEvT_T0_PN15function_traitsISD_E11result_typeE.uses_vcc, 1
	.set _ZN12_GLOBAL__N_141elementwise_kernel_with_index_grid_strideIiZZZN2at6native15arange_cuda_outERKN3c106ScalarES6_S6_RNS1_6TensorEENKUlvE_clEvENKUlvE2_clEvEUllE_EEvT_T0_PN15function_traitsISD_E11result_typeE.uses_flat_scratch, 0
	.set _ZN12_GLOBAL__N_141elementwise_kernel_with_index_grid_strideIiZZZN2at6native15arange_cuda_outERKN3c106ScalarES6_S6_RNS1_6TensorEENKUlvE_clEvENKUlvE2_clEvEUllE_EEvT_T0_PN15function_traitsISD_E11result_typeE.has_dyn_sized_stack, 0
	.set _ZN12_GLOBAL__N_141elementwise_kernel_with_index_grid_strideIiZZZN2at6native15arange_cuda_outERKN3c106ScalarES6_S6_RNS1_6TensorEENKUlvE_clEvENKUlvE2_clEvEUllE_EEvT_T0_PN15function_traitsISD_E11result_typeE.has_recursion, 0
	.set _ZN12_GLOBAL__N_141elementwise_kernel_with_index_grid_strideIiZZZN2at6native15arange_cuda_outERKN3c106ScalarES6_S6_RNS1_6TensorEENKUlvE_clEvENKUlvE2_clEvEUllE_EEvT_T0_PN15function_traitsISD_E11result_typeE.has_indirect_call, 0
	.section	.AMDGPU.csdata,"",@progbits
; Kernel info:
; codeLenInByte = 248
; TotalNumSgprs: 20
; NumVgprs: 9
; ScratchSize: 0
; MemoryBound: 0
; FloatMode: 240
; IeeeMode: 1
; LDSByteSize: 0 bytes/workgroup (compile time only)
; SGPRBlocks: 2
; VGPRBlocks: 2
; NumSGPRsForWavesPerEU: 20
; NumVGPRsForWavesPerEU: 9
; Occupancy: 10
; WaveLimiterHint : 0
; COMPUTE_PGM_RSRC2:SCRATCH_EN: 0
; COMPUTE_PGM_RSRC2:USER_SGPR: 6
; COMPUTE_PGM_RSRC2:TRAP_HANDLER: 0
; COMPUTE_PGM_RSRC2:TGID_X_EN: 1
; COMPUTE_PGM_RSRC2:TGID_Y_EN: 0
; COMPUTE_PGM_RSRC2:TGID_Z_EN: 0
; COMPUTE_PGM_RSRC2:TIDIG_COMP_CNT: 0
	.section	.text._ZN12_GLOBAL__N_141elementwise_kernel_with_index_grid_strideIlZZZN2at6native15arange_cuda_outERKN3c106ScalarES6_S6_RNS1_6TensorEENKUlvE_clEvENKUlvE2_clEvEUllE_EEvT_T0_PN15function_traitsISD_E11result_typeE,"axG",@progbits,_ZN12_GLOBAL__N_141elementwise_kernel_with_index_grid_strideIlZZZN2at6native15arange_cuda_outERKN3c106ScalarES6_S6_RNS1_6TensorEENKUlvE_clEvENKUlvE2_clEvEUllE_EEvT_T0_PN15function_traitsISD_E11result_typeE,comdat
	.globl	_ZN12_GLOBAL__N_141elementwise_kernel_with_index_grid_strideIlZZZN2at6native15arange_cuda_outERKN3c106ScalarES6_S6_RNS1_6TensorEENKUlvE_clEvENKUlvE2_clEvEUllE_EEvT_T0_PN15function_traitsISD_E11result_typeE ; -- Begin function _ZN12_GLOBAL__N_141elementwise_kernel_with_index_grid_strideIlZZZN2at6native15arange_cuda_outERKN3c106ScalarES6_S6_RNS1_6TensorEENKUlvE_clEvENKUlvE2_clEvEUllE_EEvT_T0_PN15function_traitsISD_E11result_typeE
	.p2align	8
	.type	_ZN12_GLOBAL__N_141elementwise_kernel_with_index_grid_strideIlZZZN2at6native15arange_cuda_outERKN3c106ScalarES6_S6_RNS1_6TensorEENKUlvE_clEvENKUlvE2_clEvEUllE_EEvT_T0_PN15function_traitsISD_E11result_typeE,@function
_ZN12_GLOBAL__N_141elementwise_kernel_with_index_grid_strideIlZZZN2at6native15arange_cuda_outERKN3c106ScalarES6_S6_RNS1_6TensorEENKUlvE_clEvENKUlvE2_clEvEUllE_EEvT_T0_PN15function_traitsISD_E11result_typeE: ; @_ZN12_GLOBAL__N_141elementwise_kernel_with_index_grid_strideIlZZZN2at6native15arange_cuda_outERKN3c106ScalarES6_S6_RNS1_6TensorEENKUlvE_clEvENKUlvE2_clEvEUllE_EEvT_T0_PN15function_traitsISD_E11result_typeE
; %bb.0:
	s_load_dword s2, s[4:5], 0x2c
	s_load_dwordx8 s[8:15], s[4:5], 0x0
	s_add_u32 s0, s4, 32
	s_addc_u32 s1, s5, 0
	v_mov_b32_e32 v1, 0
	s_waitcnt lgkmcnt(0)
	s_and_b32 s2, s2, 0xffff
	v_mov_b32_e32 v2, s6
	v_mad_u64_u32 v[0:1], s[4:5], s2, v2, v[0:1]
	v_cmp_gt_i64_e32 vcc, s[8:9], v[0:1]
	s_and_saveexec_b64 s[4:5], vcc
	s_cbranch_execz .LBB69_3
; %bb.1:
	s_load_dword s4, s[0:1], 0x0
	v_mov_b32_e32 v2, s10
	v_mov_b32_e32 v3, s11
	v_mul_lo_u32 v4, s12, v1
	v_mul_lo_u32 v5, s13, v0
	v_mad_u64_u32 v[2:3], s[0:1], s12, v0, v[2:3]
	s_waitcnt lgkmcnt(0)
	s_mul_hi_u32 s3, s2, s4
	s_mul_i32 s2, s2, s4
	v_add3_u32 v3, v5, v3, v4
	s_mul_i32 s0, s2, s13
	s_mul_hi_u32 s1, s2, s12
	v_lshlrev_b64 v[4:5], 3, v[0:1]
	s_add_i32 s0, s1, s0
	s_mul_i32 s1, s3, s12
	s_add_i32 s0, s0, s1
	v_mov_b32_e32 v6, s15
	v_add_co_u32_e32 v4, vcc, s14, v4
	s_lshl_b64 s[4:5], s[2:3], 3
	s_mul_i32 s10, s2, s12
	v_addc_co_u32_e32 v5, vcc, v6, v5, vcc
	s_mov_b64 s[6:7], 0
	v_mov_b32_e32 v6, s3
	v_mov_b32_e32 v7, s0
	;; [unrolled: 1-line block ×3, first 2 shown]
.LBB69_2:                               ; =>This Inner Loop Header: Depth=1
	v_add_co_u32_e32 v0, vcc, s2, v0
	v_addc_co_u32_e32 v1, vcc, v1, v6, vcc
	global_store_dwordx2 v[4:5], v[2:3], off
	v_add_co_u32_e32 v2, vcc, s10, v2
	v_addc_co_u32_e32 v3, vcc, v3, v7, vcc
	v_cmp_le_i64_e64 s[0:1], s[8:9], v[0:1]
	v_add_co_u32_e32 v4, vcc, s4, v4
	s_or_b64 s[6:7], s[0:1], s[6:7]
	v_addc_co_u32_e32 v5, vcc, v5, v8, vcc
	s_andn2_b64 exec, exec, s[6:7]
	s_cbranch_execnz .LBB69_2
.LBB69_3:
	s_endpgm
	.section	.rodata,"a",@progbits
	.p2align	6, 0x0
	.amdhsa_kernel _ZN12_GLOBAL__N_141elementwise_kernel_with_index_grid_strideIlZZZN2at6native15arange_cuda_outERKN3c106ScalarES6_S6_RNS1_6TensorEENKUlvE_clEvENKUlvE2_clEvEUllE_EEvT_T0_PN15function_traitsISD_E11result_typeE
		.amdhsa_group_segment_fixed_size 0
		.amdhsa_private_segment_fixed_size 0
		.amdhsa_kernarg_size 288
		.amdhsa_user_sgpr_count 6
		.amdhsa_user_sgpr_private_segment_buffer 1
		.amdhsa_user_sgpr_dispatch_ptr 0
		.amdhsa_user_sgpr_queue_ptr 0
		.amdhsa_user_sgpr_kernarg_segment_ptr 1
		.amdhsa_user_sgpr_dispatch_id 0
		.amdhsa_user_sgpr_flat_scratch_init 0
		.amdhsa_user_sgpr_private_segment_size 0
		.amdhsa_uses_dynamic_stack 0
		.amdhsa_system_sgpr_private_segment_wavefront_offset 0
		.amdhsa_system_sgpr_workgroup_id_x 1
		.amdhsa_system_sgpr_workgroup_id_y 0
		.amdhsa_system_sgpr_workgroup_id_z 0
		.amdhsa_system_sgpr_workgroup_info 0
		.amdhsa_system_vgpr_workitem_id 0
		.amdhsa_next_free_vgpr 9
		.amdhsa_next_free_sgpr 16
		.amdhsa_reserve_vcc 1
		.amdhsa_reserve_flat_scratch 0
		.amdhsa_float_round_mode_32 0
		.amdhsa_float_round_mode_16_64 0
		.amdhsa_float_denorm_mode_32 3
		.amdhsa_float_denorm_mode_16_64 3
		.amdhsa_dx10_clamp 1
		.amdhsa_ieee_mode 1
		.amdhsa_fp16_overflow 0
		.amdhsa_exception_fp_ieee_invalid_op 0
		.amdhsa_exception_fp_denorm_src 0
		.amdhsa_exception_fp_ieee_div_zero 0
		.amdhsa_exception_fp_ieee_overflow 0
		.amdhsa_exception_fp_ieee_underflow 0
		.amdhsa_exception_fp_ieee_inexact 0
		.amdhsa_exception_int_div_zero 0
	.end_amdhsa_kernel
	.section	.text._ZN12_GLOBAL__N_141elementwise_kernel_with_index_grid_strideIlZZZN2at6native15arange_cuda_outERKN3c106ScalarES6_S6_RNS1_6TensorEENKUlvE_clEvENKUlvE2_clEvEUllE_EEvT_T0_PN15function_traitsISD_E11result_typeE,"axG",@progbits,_ZN12_GLOBAL__N_141elementwise_kernel_with_index_grid_strideIlZZZN2at6native15arange_cuda_outERKN3c106ScalarES6_S6_RNS1_6TensorEENKUlvE_clEvENKUlvE2_clEvEUllE_EEvT_T0_PN15function_traitsISD_E11result_typeE,comdat
.Lfunc_end69:
	.size	_ZN12_GLOBAL__N_141elementwise_kernel_with_index_grid_strideIlZZZN2at6native15arange_cuda_outERKN3c106ScalarES6_S6_RNS1_6TensorEENKUlvE_clEvENKUlvE2_clEvEUllE_EEvT_T0_PN15function_traitsISD_E11result_typeE, .Lfunc_end69-_ZN12_GLOBAL__N_141elementwise_kernel_with_index_grid_strideIlZZZN2at6native15arange_cuda_outERKN3c106ScalarES6_S6_RNS1_6TensorEENKUlvE_clEvENKUlvE2_clEvEUllE_EEvT_T0_PN15function_traitsISD_E11result_typeE
                                        ; -- End function
	.set _ZN12_GLOBAL__N_141elementwise_kernel_with_index_grid_strideIlZZZN2at6native15arange_cuda_outERKN3c106ScalarES6_S6_RNS1_6TensorEENKUlvE_clEvENKUlvE2_clEvEUllE_EEvT_T0_PN15function_traitsISD_E11result_typeE.num_vgpr, 9
	.set _ZN12_GLOBAL__N_141elementwise_kernel_with_index_grid_strideIlZZZN2at6native15arange_cuda_outERKN3c106ScalarES6_S6_RNS1_6TensorEENKUlvE_clEvENKUlvE2_clEvEUllE_EEvT_T0_PN15function_traitsISD_E11result_typeE.num_agpr, 0
	.set _ZN12_GLOBAL__N_141elementwise_kernel_with_index_grid_strideIlZZZN2at6native15arange_cuda_outERKN3c106ScalarES6_S6_RNS1_6TensorEENKUlvE_clEvENKUlvE2_clEvEUllE_EEvT_T0_PN15function_traitsISD_E11result_typeE.numbered_sgpr, 16
	.set _ZN12_GLOBAL__N_141elementwise_kernel_with_index_grid_strideIlZZZN2at6native15arange_cuda_outERKN3c106ScalarES6_S6_RNS1_6TensorEENKUlvE_clEvENKUlvE2_clEvEUllE_EEvT_T0_PN15function_traitsISD_E11result_typeE.num_named_barrier, 0
	.set _ZN12_GLOBAL__N_141elementwise_kernel_with_index_grid_strideIlZZZN2at6native15arange_cuda_outERKN3c106ScalarES6_S6_RNS1_6TensorEENKUlvE_clEvENKUlvE2_clEvEUllE_EEvT_T0_PN15function_traitsISD_E11result_typeE.private_seg_size, 0
	.set _ZN12_GLOBAL__N_141elementwise_kernel_with_index_grid_strideIlZZZN2at6native15arange_cuda_outERKN3c106ScalarES6_S6_RNS1_6TensorEENKUlvE_clEvENKUlvE2_clEvEUllE_EEvT_T0_PN15function_traitsISD_E11result_typeE.uses_vcc, 1
	.set _ZN12_GLOBAL__N_141elementwise_kernel_with_index_grid_strideIlZZZN2at6native15arange_cuda_outERKN3c106ScalarES6_S6_RNS1_6TensorEENKUlvE_clEvENKUlvE2_clEvEUllE_EEvT_T0_PN15function_traitsISD_E11result_typeE.uses_flat_scratch, 0
	.set _ZN12_GLOBAL__N_141elementwise_kernel_with_index_grid_strideIlZZZN2at6native15arange_cuda_outERKN3c106ScalarES6_S6_RNS1_6TensorEENKUlvE_clEvENKUlvE2_clEvEUllE_EEvT_T0_PN15function_traitsISD_E11result_typeE.has_dyn_sized_stack, 0
	.set _ZN12_GLOBAL__N_141elementwise_kernel_with_index_grid_strideIlZZZN2at6native15arange_cuda_outERKN3c106ScalarES6_S6_RNS1_6TensorEENKUlvE_clEvENKUlvE2_clEvEUllE_EEvT_T0_PN15function_traitsISD_E11result_typeE.has_recursion, 0
	.set _ZN12_GLOBAL__N_141elementwise_kernel_with_index_grid_strideIlZZZN2at6native15arange_cuda_outERKN3c106ScalarES6_S6_RNS1_6TensorEENKUlvE_clEvENKUlvE2_clEvEUllE_EEvT_T0_PN15function_traitsISD_E11result_typeE.has_indirect_call, 0
	.section	.AMDGPU.csdata,"",@progbits
; Kernel info:
; codeLenInByte = 244
; TotalNumSgprs: 20
; NumVgprs: 9
; ScratchSize: 0
; MemoryBound: 0
; FloatMode: 240
; IeeeMode: 1
; LDSByteSize: 0 bytes/workgroup (compile time only)
; SGPRBlocks: 2
; VGPRBlocks: 2
; NumSGPRsForWavesPerEU: 20
; NumVGPRsForWavesPerEU: 9
; Occupancy: 10
; WaveLimiterHint : 0
; COMPUTE_PGM_RSRC2:SCRATCH_EN: 0
; COMPUTE_PGM_RSRC2:USER_SGPR: 6
; COMPUTE_PGM_RSRC2:TRAP_HANDLER: 0
; COMPUTE_PGM_RSRC2:TGID_X_EN: 1
; COMPUTE_PGM_RSRC2:TGID_Y_EN: 0
; COMPUTE_PGM_RSRC2:TGID_Z_EN: 0
; COMPUTE_PGM_RSRC2:TIDIG_COMP_CNT: 0
	.section	.text._ZN12_GLOBAL__N_141elementwise_kernel_with_index_grid_strideIiZZZN2at6native15arange_cuda_outERKN3c106ScalarES6_S6_RNS1_6TensorEENKUlvE_clEvENKUlvE3_clEvEUllE_EEvT_T0_PN15function_traitsISD_E11result_typeE,"axG",@progbits,_ZN12_GLOBAL__N_141elementwise_kernel_with_index_grid_strideIiZZZN2at6native15arange_cuda_outERKN3c106ScalarES6_S6_RNS1_6TensorEENKUlvE_clEvENKUlvE3_clEvEUllE_EEvT_T0_PN15function_traitsISD_E11result_typeE,comdat
	.globl	_ZN12_GLOBAL__N_141elementwise_kernel_with_index_grid_strideIiZZZN2at6native15arange_cuda_outERKN3c106ScalarES6_S6_RNS1_6TensorEENKUlvE_clEvENKUlvE3_clEvEUllE_EEvT_T0_PN15function_traitsISD_E11result_typeE ; -- Begin function _ZN12_GLOBAL__N_141elementwise_kernel_with_index_grid_strideIiZZZN2at6native15arange_cuda_outERKN3c106ScalarES6_S6_RNS1_6TensorEENKUlvE_clEvENKUlvE3_clEvEUllE_EEvT_T0_PN15function_traitsISD_E11result_typeE
	.p2align	8
	.type	_ZN12_GLOBAL__N_141elementwise_kernel_with_index_grid_strideIiZZZN2at6native15arange_cuda_outERKN3c106ScalarES6_S6_RNS1_6TensorEENKUlvE_clEvENKUlvE3_clEvEUllE_EEvT_T0_PN15function_traitsISD_E11result_typeE,@function
_ZN12_GLOBAL__N_141elementwise_kernel_with_index_grid_strideIiZZZN2at6native15arange_cuda_outERKN3c106ScalarES6_S6_RNS1_6TensorEENKUlvE_clEvENKUlvE3_clEvEUllE_EEvT_T0_PN15function_traitsISD_E11result_typeE: ; @_ZN12_GLOBAL__N_141elementwise_kernel_with_index_grid_strideIiZZZN2at6native15arange_cuda_outERKN3c106ScalarES6_S6_RNS1_6TensorEENKUlvE_clEvENKUlvE3_clEvEUllE_EEvT_T0_PN15function_traitsISD_E11result_typeE
; %bb.0:
	s_load_dword s2, s[4:5], 0x2c
	s_load_dword s12, s[4:5], 0x0
	s_add_u32 s0, s4, 32
	s_addc_u32 s1, s5, 0
	s_waitcnt lgkmcnt(0)
	s_and_b32 s3, s2, 0xffff
	s_mul_i32 s2, s6, s3
	v_add_u32_e32 v1, s2, v0
	v_cmp_gt_i32_e32 vcc, s12, v1
	s_and_saveexec_b64 s[8:9], vcc
	s_cbranch_execz .LBB70_8
; %bb.1:
	s_load_dword s0, s[0:1], 0x0
	s_waitcnt lgkmcnt(0)
	s_mul_i32 s2, s0, s3
	v_cvt_f32_u32_e32 v2, s2
	s_sub_i32 s1, 0, s2
	s_add_i32 s0, s6, s0
	s_mul_i32 s0, s0, s3
	v_rcp_iflag_f32_e32 v2, v2
	v_add_u32_e32 v4, s0, v0
	v_mov_b32_e32 v5, s0
	v_cmp_gt_i32_e32 vcc, s12, v4
	v_mul_f32_e32 v2, 0x4f7ffffe, v2
	v_cvt_u32_f32_e32 v2, v2
	v_max_i32_e32 v6, s12, v4
	s_load_dwordx4 s[8:11], s[4:5], 0x8
	s_load_dwordx2 s[6:7], s[4:5], 0x18
	s_mov_b64 s[4:5], -1
	v_mul_lo_u32 v3, s1, v2
	v_addc_co_u32_e64 v0, s[0:1], v0, v5, vcc
	v_sub_u32_e32 v0, v6, v0
	v_mul_hi_u32 v3, v2, v3
	v_add_u32_e32 v2, v2, v3
	v_mul_hi_u32 v2, v0, v2
	v_mul_lo_u32 v3, v2, s2
	v_add_u32_e32 v4, 1, v2
	v_sub_u32_e32 v0, v0, v3
	v_cmp_le_u32_e64 s[0:1], s2, v0
	v_subrev_u32_e32 v3, s2, v0
	v_cndmask_b32_e64 v2, v2, v4, s[0:1]
	v_cndmask_b32_e64 v0, v0, v3, s[0:1]
	v_add_u32_e32 v3, 1, v2
	v_cmp_le_u32_e64 s[0:1], s2, v0
	v_cndmask_b32_e64 v0, v2, v3, s[0:1]
	v_addc_co_u32_e32 v0, vcc, 1, v0, vcc
	v_cmp_lt_u32_e32 vcc, 1, v0
	s_and_saveexec_b64 s[0:1], vcc
	s_cbranch_execz .LBB70_5
; %bb.2:
	v_add_u32_e32 v2, s2, v1
	v_and_b32_e32 v4, -2, v0
	s_lshl_b32 s16, s2, 1
	v_mov_b32_e32 v3, v2
	s_waitcnt lgkmcnt(0)
	s_mov_b32 s3, s10
	s_mov_b32 s13, s10
	;; [unrolled: 1-line block ×5, first 2 shown]
	s_mov_b64 s[4:5], 0
	v_mov_b32_e32 v5, s7
	v_mov_b32_e32 v6, v4
	;; [unrolled: 1-line block ×3, first 2 shown]
.LBB70_3:                               ; =>This Inner Loop Header: Depth=1
	v_ashrrev_i32_e32 v10, 31, v2
	v_mov_b32_e32 v9, v2
	v_mul_lo_u32 v11, s3, v2
	v_add_u32_e32 v6, -2, v6
	v_lshlrev_b64 v[9:10], 1, v[9:10]
	v_ashrrev_i32_e32 v8, 31, v3
	v_mov_b32_e32 v7, v3
	v_mul_lo_u32 v12, s13, v3
	v_cmp_eq_u32_e32 vcc, 0, v6
	v_lshlrev_b64 v[7:8], 1, v[7:8]
	s_or_b64 s[4:5], vcc, s[4:5]
	v_add_co_u32_e32 v9, vcc, s6, v9
	v_addc_co_u32_e32 v10, vcc, v5, v10, vcc
	v_add_u32_e32 v3, s17, v3
	v_add_u32_e32 v2, s16, v2
	v_add_co_u32_e32 v7, vcc, s6, v7
	v_add_u32_e32 v11, s14, v11
	v_addc_co_u32_e32 v8, vcc, v5, v8, vcc
	v_add_u32_e32 v12, s15, v12
	global_store_short v[9:10], v11, off
	global_store_short v[7:8], v12, off
	s_andn2_b64 exec, exec, s[4:5]
	s_cbranch_execnz .LBB70_3
; %bb.4:
	s_or_b64 exec, exec, s[4:5]
	v_mad_u64_u32 v[1:2], s[4:5], v4, s2, v[1:2]
	v_cmp_ne_u32_e32 vcc, v0, v4
	s_orn2_b64 s[4:5], vcc, exec
.LBB70_5:
	s_or_b64 exec, exec, s[0:1]
	s_and_b64 exec, exec, s[4:5]
	s_cbranch_execz .LBB70_8
; %bb.6:
	s_waitcnt lgkmcnt(0)
	v_mov_b32_e32 v3, s8
	v_ashrrev_i32_e32 v2, 31, v1
	v_mov_b32_e32 v4, s9
	v_lshlrev_b64 v[5:6], 1, v[1:2]
	v_mad_u64_u32 v[3:4], s[0:1], s10, v1, v[3:4]
	v_mul_lo_u32 v7, s11, v1
	v_mul_lo_u32 v2, s10, v2
	s_ashr_i32 s3, s2, 31
	s_mul_hi_u32 s0, s10, s2
	s_mul_i32 s1, s10, s3
	s_add_i32 s0, s0, s1
	s_mul_i32 s1, s11, s2
	v_mov_b32_e32 v0, s7
	v_add_co_u32_e32 v5, vcc, s6, v5
	s_lshl_b64 s[4:5], s[2:3], 1
	s_add_i32 s0, s0, s1
	v_addc_co_u32_e32 v6, vcc, v0, v6, vcc
	v_add3_u32 v4, v7, v4, v2
	s_mul_i32 s3, s10, s2
	s_mov_b64 s[6:7], 0
	v_mov_b32_e32 v0, s5
	v_mov_b32_e32 v2, s0
.LBB70_7:                               ; =>This Inner Loop Header: Depth=1
	global_store_short v[5:6], v3, off
	v_add_co_u32_e32 v5, vcc, s4, v5
	v_add_u32_e32 v1, s2, v1
	v_addc_co_u32_e32 v6, vcc, v6, v0, vcc
	v_add_co_u32_e32 v3, vcc, s3, v3
	v_cmp_le_i32_e64 s[0:1], s12, v1
	s_or_b64 s[6:7], s[0:1], s[6:7]
	v_addc_co_u32_e32 v4, vcc, v4, v2, vcc
	s_andn2_b64 exec, exec, s[6:7]
	s_cbranch_execnz .LBB70_7
.LBB70_8:
	s_endpgm
	.section	.rodata,"a",@progbits
	.p2align	6, 0x0
	.amdhsa_kernel _ZN12_GLOBAL__N_141elementwise_kernel_with_index_grid_strideIiZZZN2at6native15arange_cuda_outERKN3c106ScalarES6_S6_RNS1_6TensorEENKUlvE_clEvENKUlvE3_clEvEUllE_EEvT_T0_PN15function_traitsISD_E11result_typeE
		.amdhsa_group_segment_fixed_size 0
		.amdhsa_private_segment_fixed_size 0
		.amdhsa_kernarg_size 288
		.amdhsa_user_sgpr_count 6
		.amdhsa_user_sgpr_private_segment_buffer 1
		.amdhsa_user_sgpr_dispatch_ptr 0
		.amdhsa_user_sgpr_queue_ptr 0
		.amdhsa_user_sgpr_kernarg_segment_ptr 1
		.amdhsa_user_sgpr_dispatch_id 0
		.amdhsa_user_sgpr_flat_scratch_init 0
		.amdhsa_user_sgpr_private_segment_size 0
		.amdhsa_uses_dynamic_stack 0
		.amdhsa_system_sgpr_private_segment_wavefront_offset 0
		.amdhsa_system_sgpr_workgroup_id_x 1
		.amdhsa_system_sgpr_workgroup_id_y 0
		.amdhsa_system_sgpr_workgroup_id_z 0
		.amdhsa_system_sgpr_workgroup_info 0
		.amdhsa_system_vgpr_workitem_id 0
		.amdhsa_next_free_vgpr 13
		.amdhsa_next_free_sgpr 18
		.amdhsa_reserve_vcc 1
		.amdhsa_reserve_flat_scratch 0
		.amdhsa_float_round_mode_32 0
		.amdhsa_float_round_mode_16_64 0
		.amdhsa_float_denorm_mode_32 3
		.amdhsa_float_denorm_mode_16_64 3
		.amdhsa_dx10_clamp 1
		.amdhsa_ieee_mode 1
		.amdhsa_fp16_overflow 0
		.amdhsa_exception_fp_ieee_invalid_op 0
		.amdhsa_exception_fp_denorm_src 0
		.amdhsa_exception_fp_ieee_div_zero 0
		.amdhsa_exception_fp_ieee_overflow 0
		.amdhsa_exception_fp_ieee_underflow 0
		.amdhsa_exception_fp_ieee_inexact 0
		.amdhsa_exception_int_div_zero 0
	.end_amdhsa_kernel
	.section	.text._ZN12_GLOBAL__N_141elementwise_kernel_with_index_grid_strideIiZZZN2at6native15arange_cuda_outERKN3c106ScalarES6_S6_RNS1_6TensorEENKUlvE_clEvENKUlvE3_clEvEUllE_EEvT_T0_PN15function_traitsISD_E11result_typeE,"axG",@progbits,_ZN12_GLOBAL__N_141elementwise_kernel_with_index_grid_strideIiZZZN2at6native15arange_cuda_outERKN3c106ScalarES6_S6_RNS1_6TensorEENKUlvE_clEvENKUlvE3_clEvEUllE_EEvT_T0_PN15function_traitsISD_E11result_typeE,comdat
.Lfunc_end70:
	.size	_ZN12_GLOBAL__N_141elementwise_kernel_with_index_grid_strideIiZZZN2at6native15arange_cuda_outERKN3c106ScalarES6_S6_RNS1_6TensorEENKUlvE_clEvENKUlvE3_clEvEUllE_EEvT_T0_PN15function_traitsISD_E11result_typeE, .Lfunc_end70-_ZN12_GLOBAL__N_141elementwise_kernel_with_index_grid_strideIiZZZN2at6native15arange_cuda_outERKN3c106ScalarES6_S6_RNS1_6TensorEENKUlvE_clEvENKUlvE3_clEvEUllE_EEvT_T0_PN15function_traitsISD_E11result_typeE
                                        ; -- End function
	.set _ZN12_GLOBAL__N_141elementwise_kernel_with_index_grid_strideIiZZZN2at6native15arange_cuda_outERKN3c106ScalarES6_S6_RNS1_6TensorEENKUlvE_clEvENKUlvE3_clEvEUllE_EEvT_T0_PN15function_traitsISD_E11result_typeE.num_vgpr, 13
	.set _ZN12_GLOBAL__N_141elementwise_kernel_with_index_grid_strideIiZZZN2at6native15arange_cuda_outERKN3c106ScalarES6_S6_RNS1_6TensorEENKUlvE_clEvENKUlvE3_clEvEUllE_EEvT_T0_PN15function_traitsISD_E11result_typeE.num_agpr, 0
	.set _ZN12_GLOBAL__N_141elementwise_kernel_with_index_grid_strideIiZZZN2at6native15arange_cuda_outERKN3c106ScalarES6_S6_RNS1_6TensorEENKUlvE_clEvENKUlvE3_clEvEUllE_EEvT_T0_PN15function_traitsISD_E11result_typeE.numbered_sgpr, 18
	.set _ZN12_GLOBAL__N_141elementwise_kernel_with_index_grid_strideIiZZZN2at6native15arange_cuda_outERKN3c106ScalarES6_S6_RNS1_6TensorEENKUlvE_clEvENKUlvE3_clEvEUllE_EEvT_T0_PN15function_traitsISD_E11result_typeE.num_named_barrier, 0
	.set _ZN12_GLOBAL__N_141elementwise_kernel_with_index_grid_strideIiZZZN2at6native15arange_cuda_outERKN3c106ScalarES6_S6_RNS1_6TensorEENKUlvE_clEvENKUlvE3_clEvEUllE_EEvT_T0_PN15function_traitsISD_E11result_typeE.private_seg_size, 0
	.set _ZN12_GLOBAL__N_141elementwise_kernel_with_index_grid_strideIiZZZN2at6native15arange_cuda_outERKN3c106ScalarES6_S6_RNS1_6TensorEENKUlvE_clEvENKUlvE3_clEvEUllE_EEvT_T0_PN15function_traitsISD_E11result_typeE.uses_vcc, 1
	.set _ZN12_GLOBAL__N_141elementwise_kernel_with_index_grid_strideIiZZZN2at6native15arange_cuda_outERKN3c106ScalarES6_S6_RNS1_6TensorEENKUlvE_clEvENKUlvE3_clEvEUllE_EEvT_T0_PN15function_traitsISD_E11result_typeE.uses_flat_scratch, 0
	.set _ZN12_GLOBAL__N_141elementwise_kernel_with_index_grid_strideIiZZZN2at6native15arange_cuda_outERKN3c106ScalarES6_S6_RNS1_6TensorEENKUlvE_clEvENKUlvE3_clEvEUllE_EEvT_T0_PN15function_traitsISD_E11result_typeE.has_dyn_sized_stack, 0
	.set _ZN12_GLOBAL__N_141elementwise_kernel_with_index_grid_strideIiZZZN2at6native15arange_cuda_outERKN3c106ScalarES6_S6_RNS1_6TensorEENKUlvE_clEvENKUlvE3_clEvEUllE_EEvT_T0_PN15function_traitsISD_E11result_typeE.has_recursion, 0
	.set _ZN12_GLOBAL__N_141elementwise_kernel_with_index_grid_strideIiZZZN2at6native15arange_cuda_outERKN3c106ScalarES6_S6_RNS1_6TensorEENKUlvE_clEvENKUlvE3_clEvEUllE_EEvT_T0_PN15function_traitsISD_E11result_typeE.has_indirect_call, 0
	.section	.AMDGPU.csdata,"",@progbits
; Kernel info:
; codeLenInByte = 628
; TotalNumSgprs: 22
; NumVgprs: 13
; ScratchSize: 0
; MemoryBound: 0
; FloatMode: 240
; IeeeMode: 1
; LDSByteSize: 0 bytes/workgroup (compile time only)
; SGPRBlocks: 2
; VGPRBlocks: 3
; NumSGPRsForWavesPerEU: 22
; NumVGPRsForWavesPerEU: 13
; Occupancy: 10
; WaveLimiterHint : 0
; COMPUTE_PGM_RSRC2:SCRATCH_EN: 0
; COMPUTE_PGM_RSRC2:USER_SGPR: 6
; COMPUTE_PGM_RSRC2:TRAP_HANDLER: 0
; COMPUTE_PGM_RSRC2:TGID_X_EN: 1
; COMPUTE_PGM_RSRC2:TGID_Y_EN: 0
; COMPUTE_PGM_RSRC2:TGID_Z_EN: 0
; COMPUTE_PGM_RSRC2:TIDIG_COMP_CNT: 0
	.section	.text._ZN12_GLOBAL__N_141elementwise_kernel_with_index_grid_strideIlZZZN2at6native15arange_cuda_outERKN3c106ScalarES6_S6_RNS1_6TensorEENKUlvE_clEvENKUlvE3_clEvEUllE_EEvT_T0_PN15function_traitsISD_E11result_typeE,"axG",@progbits,_ZN12_GLOBAL__N_141elementwise_kernel_with_index_grid_strideIlZZZN2at6native15arange_cuda_outERKN3c106ScalarES6_S6_RNS1_6TensorEENKUlvE_clEvENKUlvE3_clEvEUllE_EEvT_T0_PN15function_traitsISD_E11result_typeE,comdat
	.globl	_ZN12_GLOBAL__N_141elementwise_kernel_with_index_grid_strideIlZZZN2at6native15arange_cuda_outERKN3c106ScalarES6_S6_RNS1_6TensorEENKUlvE_clEvENKUlvE3_clEvEUllE_EEvT_T0_PN15function_traitsISD_E11result_typeE ; -- Begin function _ZN12_GLOBAL__N_141elementwise_kernel_with_index_grid_strideIlZZZN2at6native15arange_cuda_outERKN3c106ScalarES6_S6_RNS1_6TensorEENKUlvE_clEvENKUlvE3_clEvEUllE_EEvT_T0_PN15function_traitsISD_E11result_typeE
	.p2align	8
	.type	_ZN12_GLOBAL__N_141elementwise_kernel_with_index_grid_strideIlZZZN2at6native15arange_cuda_outERKN3c106ScalarES6_S6_RNS1_6TensorEENKUlvE_clEvENKUlvE3_clEvEUllE_EEvT_T0_PN15function_traitsISD_E11result_typeE,@function
_ZN12_GLOBAL__N_141elementwise_kernel_with_index_grid_strideIlZZZN2at6native15arange_cuda_outERKN3c106ScalarES6_S6_RNS1_6TensorEENKUlvE_clEvENKUlvE3_clEvEUllE_EEvT_T0_PN15function_traitsISD_E11result_typeE: ; @_ZN12_GLOBAL__N_141elementwise_kernel_with_index_grid_strideIlZZZN2at6native15arange_cuda_outERKN3c106ScalarES6_S6_RNS1_6TensorEENKUlvE_clEvENKUlvE3_clEvEUllE_EEvT_T0_PN15function_traitsISD_E11result_typeE
; %bb.0:
	s_load_dword s2, s[4:5], 0x2c
	s_load_dwordx8 s[8:15], s[4:5], 0x0
	s_add_u32 s0, s4, 32
	s_addc_u32 s1, s5, 0
	v_mov_b32_e32 v1, 0
	s_waitcnt lgkmcnt(0)
	s_and_b32 s18, s2, 0xffff
	v_mov_b32_e32 v2, s6
	v_mad_u64_u32 v[2:3], s[2:3], s18, v2, v[0:1]
	v_cmp_gt_i64_e32 vcc, s[8:9], v[2:3]
	s_and_saveexec_b64 s[2:3], vcc
	s_cbranch_execz .LBB71_14
; %bb.1:
	s_load_dword s19, s[0:1], 0x0
	v_mov_b32_e32 v4, s18
	v_mov_b32_e32 v7, s9
	;; [unrolled: 1-line block ×3, first 2 shown]
	s_waitcnt lgkmcnt(0)
	s_add_u32 s0, s6, s19
	v_mad_u64_u32 v[5:6], s[0:1], s0, v4, v[0:1]
	s_addc_u32 s0, 0, 0
	s_mul_i32 s0, s0, s18
	v_add_u32_e32 v6, s0, v6
	v_cmp_gt_i64_e32 vcc, s[8:9], v[5:6]
	s_mul_hi_u32 s3, s18, s19
	v_cndmask_b32_e64 v4, 0, 1, vcc
	v_cndmask_b32_e32 v0, v6, v7, vcc
	v_cndmask_b32_e32 v7, v5, v8, vcc
	v_add_co_u32_e32 v5, vcc, v5, v4
	v_addc_co_u32_e32 v6, vcc, 0, v6, vcc
	v_sub_co_u32_e32 v5, vcc, v7, v5
	v_subb_co_u32_e32 v6, vcc, v0, v6, vcc
	v_or_b32_e32 v8, s3, v6
	v_mov_b32_e32 v7, v1
	v_cmp_ne_u64_e32 vcc, 0, v[7:8]
	s_mul_i32 s2, s18, s19
                                        ; implicit-def: $vgpr0_vgpr1
	s_and_saveexec_b64 s[0:1], vcc
	s_xor_b64 s[4:5], exec, s[0:1]
	s_cbranch_execz .LBB71_3
; %bb.2:
	v_cvt_f32_u32_e32 v0, s2
	v_cvt_f32_u32_e32 v1, s3
	s_sub_u32 s6, 0, s2
	s_subb_u32 s7, 0, s3
	v_madmk_f32 v0, v1, 0x4f800000, v0
	v_rcp_f32_e32 v0, v0
	v_mul_f32_e32 v0, 0x5f7ffffc, v0
	v_mul_f32_e32 v1, 0x2f800000, v0
	v_trunc_f32_e32 v1, v1
	v_madmk_f32 v0, v1, 0xcf800000, v0
	v_cvt_u32_f32_e32 v1, v1
	v_cvt_u32_f32_e32 v0, v0
	v_readfirstlane_b32 s16, v1
	v_readfirstlane_b32 s0, v0
	s_mul_i32 s1, s6, s16
	s_mul_hi_u32 s20, s6, s0
	s_mul_i32 s17, s7, s0
	s_add_i32 s1, s20, s1
	s_mul_i32 s21, s6, s0
	s_add_i32 s1, s1, s17
	s_mul_i32 s20, s0, s1
	s_mul_hi_u32 s22, s0, s21
	s_mul_hi_u32 s17, s0, s1
	s_add_u32 s20, s22, s20
	s_addc_u32 s17, 0, s17
	s_mul_hi_u32 s23, s16, s21
	s_mul_i32 s21, s16, s21
	s_add_u32 s20, s20, s21
	s_mul_hi_u32 s22, s16, s1
	s_addc_u32 s17, s17, s23
	s_addc_u32 s20, s22, 0
	s_mul_i32 s1, s16, s1
	s_add_u32 s1, s17, s1
	s_addc_u32 s17, 0, s20
	s_add_u32 s20, s0, s1
	s_cselect_b64 s[0:1], -1, 0
	s_cmp_lg_u64 s[0:1], 0
	s_addc_u32 s16, s16, s17
	s_mul_i32 s0, s6, s16
	s_mul_hi_u32 s1, s6, s20
	s_add_i32 s0, s1, s0
	s_mul_i32 s7, s7, s20
	s_add_i32 s0, s0, s7
	s_mul_i32 s6, s6, s20
	s_mul_hi_u32 s7, s16, s6
	s_mul_i32 s17, s16, s6
	s_mul_i32 s22, s20, s0
	s_mul_hi_u32 s6, s20, s6
	s_mul_hi_u32 s21, s20, s0
	s_add_u32 s6, s6, s22
	s_addc_u32 s21, 0, s21
	s_add_u32 s6, s6, s17
	s_mul_hi_u32 s1, s16, s0
	s_addc_u32 s6, s21, s7
	s_addc_u32 s1, s1, 0
	s_mul_i32 s0, s16, s0
	s_add_u32 s0, s6, s0
	s_addc_u32 s6, 0, s1
	s_add_u32 s7, s20, s0
	s_cselect_b64 s[0:1], -1, 0
	s_cmp_lg_u64 s[0:1], 0
	s_addc_u32 s6, s16, s6
	v_mad_u64_u32 v[0:1], s[0:1], v5, s6, 0
	v_mul_hi_u32 v7, v5, s7
	v_add_co_u32_e32 v9, vcc, v7, v0
	v_addc_co_u32_e32 v10, vcc, 0, v1, vcc
	v_mad_u64_u32 v[0:1], s[0:1], v6, s7, 0
	v_mad_u64_u32 v[7:8], s[0:1], v6, s6, 0
	v_add_co_u32_e32 v0, vcc, v9, v0
	v_addc_co_u32_e32 v0, vcc, v10, v1, vcc
	v_addc_co_u32_e32 v1, vcc, 0, v8, vcc
	v_add_co_u32_e32 v7, vcc, v0, v7
	v_addc_co_u32_e32 v8, vcc, 0, v1, vcc
	v_mul_lo_u32 v9, s3, v7
	v_mul_lo_u32 v10, s2, v8
	v_mad_u64_u32 v[0:1], s[0:1], s2, v7, 0
	v_add3_u32 v1, v1, v10, v9
	v_sub_u32_e32 v9, v6, v1
	v_mov_b32_e32 v10, s3
	v_sub_co_u32_e32 v0, vcc, v5, v0
	v_subb_co_u32_e64 v5, s[0:1], v9, v10, vcc
	v_subrev_co_u32_e64 v9, s[0:1], s2, v0
	v_subbrev_co_u32_e64 v5, s[0:1], 0, v5, s[0:1]
	v_cmp_le_u32_e64 s[0:1], s3, v5
	v_cndmask_b32_e64 v10, 0, -1, s[0:1]
	v_cmp_le_u32_e64 s[0:1], s2, v9
	v_cndmask_b32_e64 v9, 0, -1, s[0:1]
	v_cmp_eq_u32_e64 s[0:1], s3, v5
	v_cndmask_b32_e64 v5, v10, v9, s[0:1]
	v_add_co_u32_e64 v9, s[0:1], 2, v7
	v_subb_co_u32_e32 v1, vcc, v6, v1, vcc
	v_addc_co_u32_e64 v10, s[0:1], 0, v8, s[0:1]
	v_cmp_le_u32_e32 vcc, s3, v1
	v_add_co_u32_e64 v11, s[0:1], 1, v7
	v_cndmask_b32_e64 v6, 0, -1, vcc
	v_cmp_le_u32_e32 vcc, s2, v0
	v_addc_co_u32_e64 v12, s[0:1], 0, v8, s[0:1]
	v_cndmask_b32_e64 v0, 0, -1, vcc
	v_cmp_eq_u32_e32 vcc, s3, v1
	v_cmp_ne_u32_e64 s[0:1], 0, v5
	v_cndmask_b32_e32 v0, v6, v0, vcc
	v_cndmask_b32_e64 v5, v12, v10, s[0:1]
	v_cmp_ne_u32_e32 vcc, 0, v0
	v_cndmask_b32_e64 v0, v11, v9, s[0:1]
	v_cndmask_b32_e32 v1, v8, v5, vcc
	v_cndmask_b32_e32 v0, v7, v0, vcc
                                        ; implicit-def: $vgpr5
.LBB71_3:
	s_andn2_saveexec_b64 s[0:1], s[4:5]
	s_cbranch_execz .LBB71_5
; %bb.4:
	v_cvt_f32_u32_e32 v0, s2
	s_sub_i32 s4, 0, s2
	v_rcp_iflag_f32_e32 v0, v0
	v_mul_f32_e32 v0, 0x4f7ffffe, v0
	v_cvt_u32_f32_e32 v0, v0
	v_mul_lo_u32 v1, s4, v0
	v_mul_hi_u32 v1, v0, v1
	v_add_u32_e32 v0, v0, v1
	v_mul_hi_u32 v0, v5, v0
	v_mul_lo_u32 v1, v0, s2
	v_add_u32_e32 v6, 1, v0
	v_sub_u32_e32 v1, v5, v1
	v_subrev_u32_e32 v5, s2, v1
	v_cmp_le_u32_e32 vcc, s2, v1
	v_cndmask_b32_e32 v1, v1, v5, vcc
	v_cndmask_b32_e32 v0, v0, v6, vcc
	v_add_u32_e32 v5, 1, v0
	v_cmp_le_u32_e32 vcc, s2, v1
	v_cndmask_b32_e32 v0, v0, v5, vcc
	v_mov_b32_e32 v1, 0
.LBB71_5:
	s_or_b64 exec, exec, s[0:1]
	v_add_co_u32_e32 v0, vcc, v0, v4
	v_addc_co_u32_e32 v1, vcc, 0, v1, vcc
	v_add_co_u32_e32 v0, vcc, 1, v0
	v_addc_co_u32_e32 v1, vcc, 0, v1, vcc
	v_cmp_lt_u64_e32 vcc, 1, v[0:1]
	s_mov_b64 s[4:5], 0
                                        ; implicit-def: $vgpr4_vgpr5
	s_and_saveexec_b64 s[0:1], vcc
	s_xor_b64 s[0:1], exec, s[0:1]
	s_cbranch_execnz .LBB71_8
; %bb.6:
	s_andn2_saveexec_b64 s[0:1], s[0:1]
	s_cbranch_execnz .LBB71_11
.LBB71_7:
	s_or_b64 exec, exec, s[0:1]
	s_and_b64 exec, exec, s[4:5]
	s_cbranch_execnz .LBB71_12
	s_branch .LBB71_14
.LBB71_8:
	v_mov_b32_e32 v5, s3
	v_add_co_u32_e32 v4, vcc, s2, v2
	v_lshlrev_b64 v[6:7], 1, v[2:3]
	v_addc_co_u32_e32 v5, vcc, v3, v5, vcc
	v_mov_b32_e32 v9, v1
	v_mov_b32_e32 v11, s15
	v_add_co_u32_e32 v10, vcc, s14, v6
	v_and_b32_e32 v8, -2, v0
	s_lshl_b64 s[4:5], s[2:3], 1
	v_addc_co_u32_e32 v11, vcc, v11, v7, vcc
	s_lshl_b64 s[16:17], s[2:3], 2
	v_mov_b32_e32 v13, v9
	v_mov_b32_e32 v7, v5
	s_mov_b32 s20, s12
	s_mov_b32 s21, s12
	;; [unrolled: 1-line block ×5, first 2 shown]
	s_mov_b64 s[6:7], 0
	v_mov_b32_e32 v14, s5
	v_mov_b32_e32 v15, s5
	;; [unrolled: 1-line block ×8, first 2 shown]
.LBB71_9:                               ; =>This Inner Loop Header: Depth=1
	v_add_co_u32_e32 v18, vcc, s4, v10
	v_addc_co_u32_e32 v19, vcc, v11, v14, vcc
	v_mul_lo_u32 v21, v6, s21
	v_add_co_u32_e32 v6, vcc, s24, v6
	v_addc_co_u32_e32 v7, vcc, v7, v15, vcc
	v_mul_lo_u32 v20, v4, s20
	v_add_co_u32_e32 v4, vcc, s4, v4
	v_addc_co_u32_e32 v5, vcc, v5, v16, vcc
	v_add_co_u32_e32 v12, vcc, -2, v12
	v_addc_co_u32_e32 v13, vcc, -1, v13, vcc
	v_cmp_eq_u64_e32 vcc, 0, v[12:13]
	v_add_u32_e32 v20, s22, v20
	s_or_b64 s[6:7], vcc, s[6:7]
	v_add_u32_e32 v21, s23, v21
	global_store_short v[10:11], v20, off
	global_store_short v[18:19], v21, off
	v_add_co_u32_e32 v10, vcc, s16, v10
	v_addc_co_u32_e32 v11, vcc, v11, v17, vcc
	s_andn2_b64 exec, exec, s[6:7]
	s_cbranch_execnz .LBB71_9
; %bb.10:
	s_or_b64 exec, exec, s[6:7]
	v_mad_u64_u32 v[2:3], s[6:7], v8, s2, v[2:3]
	v_mul_lo_u32 v4, v8, s3
	v_mul_lo_u32 v5, v9, s2
	v_cmp_ne_u64_e32 vcc, v[0:1], v[8:9]
	v_add3_u32 v3, v5, v3, v4
	v_mov_b32_e32 v4, s4
	v_mov_b32_e32 v5, s5
	s_and_b64 s[4:5], vcc, exec
	s_andn2_saveexec_b64 s[0:1], s[0:1]
	s_cbranch_execz .LBB71_7
.LBB71_11:
	s_lshl_b64 s[6:7], s[2:3], 1
	v_mov_b32_e32 v4, s6
	v_mov_b32_e32 v5, s7
	s_or_b64 s[4:5], s[4:5], exec
	s_or_b64 exec, exec, s[0:1]
	s_and_b64 exec, exec, s[4:5]
	s_cbranch_execz .LBB71_14
.LBB71_12:
	v_mov_b32_e32 v0, s10
	v_mov_b32_e32 v1, s11
	v_mul_lo_u32 v6, v2, s13
	v_mul_lo_u32 v7, v3, s12
	v_mad_u64_u32 v[0:1], s[0:1], v2, s12, v[0:1]
	s_mul_i32 s0, s13, s18
	s_mul_hi_u32 s1, s12, s18
	v_add3_u32 v1, v7, v1, v6
	s_add_i32 s0, s1, s0
	s_mul_i32 s1, s12, s18
	v_lshlrev_b64 v[6:7], 1, v[2:3]
	s_mul_i32 s0, s0, s19
	s_mul_hi_u32 s4, s1, s19
	s_add_i32 s0, s4, s0
	v_mov_b32_e32 v8, s15
	v_add_co_u32_e32 v6, vcc, s14, v6
	s_mul_i32 s6, s1, s19
	v_addc_co_u32_e32 v7, vcc, v8, v7, vcc
	s_mov_b64 s[4:5], 0
	v_mov_b32_e32 v8, s3
	v_mov_b32_e32 v9, s0
.LBB71_13:                              ; =>This Inner Loop Header: Depth=1
	v_add_co_u32_e32 v2, vcc, s2, v2
	v_addc_co_u32_e32 v3, vcc, v3, v8, vcc
	global_store_short v[6:7], v0, off
	v_add_co_u32_e32 v0, vcc, s6, v0
	v_addc_co_u32_e32 v1, vcc, v1, v9, vcc
	v_cmp_le_i64_e64 s[0:1], s[8:9], v[2:3]
	v_add_co_u32_e32 v6, vcc, v6, v4
	s_or_b64 s[4:5], s[0:1], s[4:5]
	v_addc_co_u32_e32 v7, vcc, v7, v5, vcc
	s_andn2_b64 exec, exec, s[4:5]
	s_cbranch_execnz .LBB71_13
.LBB71_14:
	s_endpgm
	.section	.rodata,"a",@progbits
	.p2align	6, 0x0
	.amdhsa_kernel _ZN12_GLOBAL__N_141elementwise_kernel_with_index_grid_strideIlZZZN2at6native15arange_cuda_outERKN3c106ScalarES6_S6_RNS1_6TensorEENKUlvE_clEvENKUlvE3_clEvEUllE_EEvT_T0_PN15function_traitsISD_E11result_typeE
		.amdhsa_group_segment_fixed_size 0
		.amdhsa_private_segment_fixed_size 0
		.amdhsa_kernarg_size 288
		.amdhsa_user_sgpr_count 6
		.amdhsa_user_sgpr_private_segment_buffer 1
		.amdhsa_user_sgpr_dispatch_ptr 0
		.amdhsa_user_sgpr_queue_ptr 0
		.amdhsa_user_sgpr_kernarg_segment_ptr 1
		.amdhsa_user_sgpr_dispatch_id 0
		.amdhsa_user_sgpr_flat_scratch_init 0
		.amdhsa_user_sgpr_private_segment_size 0
		.amdhsa_uses_dynamic_stack 0
		.amdhsa_system_sgpr_private_segment_wavefront_offset 0
		.amdhsa_system_sgpr_workgroup_id_x 1
		.amdhsa_system_sgpr_workgroup_id_y 0
		.amdhsa_system_sgpr_workgroup_id_z 0
		.amdhsa_system_sgpr_workgroup_info 0
		.amdhsa_system_vgpr_workitem_id 0
		.amdhsa_next_free_vgpr 22
		.amdhsa_next_free_sgpr 25
		.amdhsa_reserve_vcc 1
		.amdhsa_reserve_flat_scratch 0
		.amdhsa_float_round_mode_32 0
		.amdhsa_float_round_mode_16_64 0
		.amdhsa_float_denorm_mode_32 3
		.amdhsa_float_denorm_mode_16_64 3
		.amdhsa_dx10_clamp 1
		.amdhsa_ieee_mode 1
		.amdhsa_fp16_overflow 0
		.amdhsa_exception_fp_ieee_invalid_op 0
		.amdhsa_exception_fp_denorm_src 0
		.amdhsa_exception_fp_ieee_div_zero 0
		.amdhsa_exception_fp_ieee_overflow 0
		.amdhsa_exception_fp_ieee_underflow 0
		.amdhsa_exception_fp_ieee_inexact 0
		.amdhsa_exception_int_div_zero 0
	.end_amdhsa_kernel
	.section	.text._ZN12_GLOBAL__N_141elementwise_kernel_with_index_grid_strideIlZZZN2at6native15arange_cuda_outERKN3c106ScalarES6_S6_RNS1_6TensorEENKUlvE_clEvENKUlvE3_clEvEUllE_EEvT_T0_PN15function_traitsISD_E11result_typeE,"axG",@progbits,_ZN12_GLOBAL__N_141elementwise_kernel_with_index_grid_strideIlZZZN2at6native15arange_cuda_outERKN3c106ScalarES6_S6_RNS1_6TensorEENKUlvE_clEvENKUlvE3_clEvEUllE_EEvT_T0_PN15function_traitsISD_E11result_typeE,comdat
.Lfunc_end71:
	.size	_ZN12_GLOBAL__N_141elementwise_kernel_with_index_grid_strideIlZZZN2at6native15arange_cuda_outERKN3c106ScalarES6_S6_RNS1_6TensorEENKUlvE_clEvENKUlvE3_clEvEUllE_EEvT_T0_PN15function_traitsISD_E11result_typeE, .Lfunc_end71-_ZN12_GLOBAL__N_141elementwise_kernel_with_index_grid_strideIlZZZN2at6native15arange_cuda_outERKN3c106ScalarES6_S6_RNS1_6TensorEENKUlvE_clEvENKUlvE3_clEvEUllE_EEvT_T0_PN15function_traitsISD_E11result_typeE
                                        ; -- End function
	.set _ZN12_GLOBAL__N_141elementwise_kernel_with_index_grid_strideIlZZZN2at6native15arange_cuda_outERKN3c106ScalarES6_S6_RNS1_6TensorEENKUlvE_clEvENKUlvE3_clEvEUllE_EEvT_T0_PN15function_traitsISD_E11result_typeE.num_vgpr, 22
	.set _ZN12_GLOBAL__N_141elementwise_kernel_with_index_grid_strideIlZZZN2at6native15arange_cuda_outERKN3c106ScalarES6_S6_RNS1_6TensorEENKUlvE_clEvENKUlvE3_clEvEUllE_EEvT_T0_PN15function_traitsISD_E11result_typeE.num_agpr, 0
	.set _ZN12_GLOBAL__N_141elementwise_kernel_with_index_grid_strideIlZZZN2at6native15arange_cuda_outERKN3c106ScalarES6_S6_RNS1_6TensorEENKUlvE_clEvENKUlvE3_clEvEUllE_EEvT_T0_PN15function_traitsISD_E11result_typeE.numbered_sgpr, 25
	.set _ZN12_GLOBAL__N_141elementwise_kernel_with_index_grid_strideIlZZZN2at6native15arange_cuda_outERKN3c106ScalarES6_S6_RNS1_6TensorEENKUlvE_clEvENKUlvE3_clEvEUllE_EEvT_T0_PN15function_traitsISD_E11result_typeE.num_named_barrier, 0
	.set _ZN12_GLOBAL__N_141elementwise_kernel_with_index_grid_strideIlZZZN2at6native15arange_cuda_outERKN3c106ScalarES6_S6_RNS1_6TensorEENKUlvE_clEvENKUlvE3_clEvEUllE_EEvT_T0_PN15function_traitsISD_E11result_typeE.private_seg_size, 0
	.set _ZN12_GLOBAL__N_141elementwise_kernel_with_index_grid_strideIlZZZN2at6native15arange_cuda_outERKN3c106ScalarES6_S6_RNS1_6TensorEENKUlvE_clEvENKUlvE3_clEvEUllE_EEvT_T0_PN15function_traitsISD_E11result_typeE.uses_vcc, 1
	.set _ZN12_GLOBAL__N_141elementwise_kernel_with_index_grid_strideIlZZZN2at6native15arange_cuda_outERKN3c106ScalarES6_S6_RNS1_6TensorEENKUlvE_clEvENKUlvE3_clEvEUllE_EEvT_T0_PN15function_traitsISD_E11result_typeE.uses_flat_scratch, 0
	.set _ZN12_GLOBAL__N_141elementwise_kernel_with_index_grid_strideIlZZZN2at6native15arange_cuda_outERKN3c106ScalarES6_S6_RNS1_6TensorEENKUlvE_clEvENKUlvE3_clEvEUllE_EEvT_T0_PN15function_traitsISD_E11result_typeE.has_dyn_sized_stack, 0
	.set _ZN12_GLOBAL__N_141elementwise_kernel_with_index_grid_strideIlZZZN2at6native15arange_cuda_outERKN3c106ScalarES6_S6_RNS1_6TensorEENKUlvE_clEvENKUlvE3_clEvEUllE_EEvT_T0_PN15function_traitsISD_E11result_typeE.has_recursion, 0
	.set _ZN12_GLOBAL__N_141elementwise_kernel_with_index_grid_strideIlZZZN2at6native15arange_cuda_outERKN3c106ScalarES6_S6_RNS1_6TensorEENKUlvE_clEvENKUlvE3_clEvEUllE_EEvT_T0_PN15function_traitsISD_E11result_typeE.has_indirect_call, 0
	.section	.AMDGPU.csdata,"",@progbits
; Kernel info:
; codeLenInByte = 1360
; TotalNumSgprs: 29
; NumVgprs: 22
; ScratchSize: 0
; MemoryBound: 0
; FloatMode: 240
; IeeeMode: 1
; LDSByteSize: 0 bytes/workgroup (compile time only)
; SGPRBlocks: 3
; VGPRBlocks: 5
; NumSGPRsForWavesPerEU: 29
; NumVGPRsForWavesPerEU: 22
; Occupancy: 10
; WaveLimiterHint : 0
; COMPUTE_PGM_RSRC2:SCRATCH_EN: 0
; COMPUTE_PGM_RSRC2:USER_SGPR: 6
; COMPUTE_PGM_RSRC2:TRAP_HANDLER: 0
; COMPUTE_PGM_RSRC2:TGID_X_EN: 1
; COMPUTE_PGM_RSRC2:TGID_Y_EN: 0
; COMPUTE_PGM_RSRC2:TGID_Z_EN: 0
; COMPUTE_PGM_RSRC2:TIDIG_COMP_CNT: 0
	.section	.text._ZN12_GLOBAL__N_141elementwise_kernel_with_index_grid_strideIiZZZN2at6native15arange_cuda_outERKN3c106ScalarES6_S6_RNS1_6TensorEENKUlvE_clEvENKUlvE4_clEvEUllE_EEvT_T0_PN15function_traitsISD_E11result_typeE,"axG",@progbits,_ZN12_GLOBAL__N_141elementwise_kernel_with_index_grid_strideIiZZZN2at6native15arange_cuda_outERKN3c106ScalarES6_S6_RNS1_6TensorEENKUlvE_clEvENKUlvE4_clEvEUllE_EEvT_T0_PN15function_traitsISD_E11result_typeE,comdat
	.globl	_ZN12_GLOBAL__N_141elementwise_kernel_with_index_grid_strideIiZZZN2at6native15arange_cuda_outERKN3c106ScalarES6_S6_RNS1_6TensorEENKUlvE_clEvENKUlvE4_clEvEUllE_EEvT_T0_PN15function_traitsISD_E11result_typeE ; -- Begin function _ZN12_GLOBAL__N_141elementwise_kernel_with_index_grid_strideIiZZZN2at6native15arange_cuda_outERKN3c106ScalarES6_S6_RNS1_6TensorEENKUlvE_clEvENKUlvE4_clEvEUllE_EEvT_T0_PN15function_traitsISD_E11result_typeE
	.p2align	8
	.type	_ZN12_GLOBAL__N_141elementwise_kernel_with_index_grid_strideIiZZZN2at6native15arange_cuda_outERKN3c106ScalarES6_S6_RNS1_6TensorEENKUlvE_clEvENKUlvE4_clEvEUllE_EEvT_T0_PN15function_traitsISD_E11result_typeE,@function
_ZN12_GLOBAL__N_141elementwise_kernel_with_index_grid_strideIiZZZN2at6native15arange_cuda_outERKN3c106ScalarES6_S6_RNS1_6TensorEENKUlvE_clEvENKUlvE4_clEvEUllE_EEvT_T0_PN15function_traitsISD_E11result_typeE: ; @_ZN12_GLOBAL__N_141elementwise_kernel_with_index_grid_strideIiZZZN2at6native15arange_cuda_outERKN3c106ScalarES6_S6_RNS1_6TensorEENKUlvE_clEvENKUlvE4_clEvEUllE_EEvT_T0_PN15function_traitsISD_E11result_typeE
; %bb.0:
	s_load_dword s0, s[4:5], 0x2c
	s_load_dword s10, s[4:5], 0x0
	s_add_u32 s8, s4, 32
	s_addc_u32 s9, s5, 0
	s_waitcnt lgkmcnt(0)
	s_and_b32 s7, s0, 0xffff
	s_mul_i32 s6, s6, s7
	v_add_u32_e32 v0, s6, v0
	v_cmp_gt_i32_e32 vcc, s10, v0
	s_and_saveexec_b64 s[0:1], vcc
	s_cbranch_execz .LBB72_3
; %bb.1:
	s_load_dword s6, s[8:9], 0x0
	s_load_dwordx2 s[12:13], s[4:5], 0x18
	s_load_dwordx4 s[0:3], s[4:5], 0x8
	v_ashrrev_i32_e32 v1, 31, v0
	v_lshlrev_b64 v[1:2], 3, v[0:1]
	s_waitcnt lgkmcnt(0)
	s_mul_i32 s4, s6, s7
	v_mov_b32_e32 v3, s13
	v_add_co_u32_e32 v1, vcc, s12, v1
	s_ashr_i32 s5, s4, 31
	v_addc_co_u32_e32 v2, vcc, v3, v2, vcc
	s_lshl_b64 s[6:7], s[4:5], 3
	v_mov_b32_e32 v4, s1
	s_mov_b64 s[8:9], 0
	v_mov_b32_e32 v3, s0
	v_mov_b32_e32 v5, s7
.LBB72_2:                               ; =>This Inner Loop Header: Depth=1
	v_cvt_f64_i32_e32 v[6:7], v0
	v_add_u32_e32 v0, s4, v0
	v_cmp_le_i32_e32 vcc, s10, v0
	s_or_b64 s[8:9], vcc, s[8:9]
	v_fma_f64 v[6:7], s[2:3], v[6:7], v[3:4]
	global_store_dwordx2 v[1:2], v[6:7], off
	v_add_co_u32_e32 v1, vcc, s6, v1
	v_addc_co_u32_e32 v2, vcc, v2, v5, vcc
	s_andn2_b64 exec, exec, s[8:9]
	s_cbranch_execnz .LBB72_2
.LBB72_3:
	s_endpgm
	.section	.rodata,"a",@progbits
	.p2align	6, 0x0
	.amdhsa_kernel _ZN12_GLOBAL__N_141elementwise_kernel_with_index_grid_strideIiZZZN2at6native15arange_cuda_outERKN3c106ScalarES6_S6_RNS1_6TensorEENKUlvE_clEvENKUlvE4_clEvEUllE_EEvT_T0_PN15function_traitsISD_E11result_typeE
		.amdhsa_group_segment_fixed_size 0
		.amdhsa_private_segment_fixed_size 0
		.amdhsa_kernarg_size 288
		.amdhsa_user_sgpr_count 6
		.amdhsa_user_sgpr_private_segment_buffer 1
		.amdhsa_user_sgpr_dispatch_ptr 0
		.amdhsa_user_sgpr_queue_ptr 0
		.amdhsa_user_sgpr_kernarg_segment_ptr 1
		.amdhsa_user_sgpr_dispatch_id 0
		.amdhsa_user_sgpr_flat_scratch_init 0
		.amdhsa_user_sgpr_private_segment_size 0
		.amdhsa_uses_dynamic_stack 0
		.amdhsa_system_sgpr_private_segment_wavefront_offset 0
		.amdhsa_system_sgpr_workgroup_id_x 1
		.amdhsa_system_sgpr_workgroup_id_y 0
		.amdhsa_system_sgpr_workgroup_id_z 0
		.amdhsa_system_sgpr_workgroup_info 0
		.amdhsa_system_vgpr_workitem_id 0
		.amdhsa_next_free_vgpr 8
		.amdhsa_next_free_sgpr 14
		.amdhsa_reserve_vcc 1
		.amdhsa_reserve_flat_scratch 0
		.amdhsa_float_round_mode_32 0
		.amdhsa_float_round_mode_16_64 0
		.amdhsa_float_denorm_mode_32 3
		.amdhsa_float_denorm_mode_16_64 3
		.amdhsa_dx10_clamp 1
		.amdhsa_ieee_mode 1
		.amdhsa_fp16_overflow 0
		.amdhsa_exception_fp_ieee_invalid_op 0
		.amdhsa_exception_fp_denorm_src 0
		.amdhsa_exception_fp_ieee_div_zero 0
		.amdhsa_exception_fp_ieee_overflow 0
		.amdhsa_exception_fp_ieee_underflow 0
		.amdhsa_exception_fp_ieee_inexact 0
		.amdhsa_exception_int_div_zero 0
	.end_amdhsa_kernel
	.section	.text._ZN12_GLOBAL__N_141elementwise_kernel_with_index_grid_strideIiZZZN2at6native15arange_cuda_outERKN3c106ScalarES6_S6_RNS1_6TensorEENKUlvE_clEvENKUlvE4_clEvEUllE_EEvT_T0_PN15function_traitsISD_E11result_typeE,"axG",@progbits,_ZN12_GLOBAL__N_141elementwise_kernel_with_index_grid_strideIiZZZN2at6native15arange_cuda_outERKN3c106ScalarES6_S6_RNS1_6TensorEENKUlvE_clEvENKUlvE4_clEvEUllE_EEvT_T0_PN15function_traitsISD_E11result_typeE,comdat
.Lfunc_end72:
	.size	_ZN12_GLOBAL__N_141elementwise_kernel_with_index_grid_strideIiZZZN2at6native15arange_cuda_outERKN3c106ScalarES6_S6_RNS1_6TensorEENKUlvE_clEvENKUlvE4_clEvEUllE_EEvT_T0_PN15function_traitsISD_E11result_typeE, .Lfunc_end72-_ZN12_GLOBAL__N_141elementwise_kernel_with_index_grid_strideIiZZZN2at6native15arange_cuda_outERKN3c106ScalarES6_S6_RNS1_6TensorEENKUlvE_clEvENKUlvE4_clEvEUllE_EEvT_T0_PN15function_traitsISD_E11result_typeE
                                        ; -- End function
	.set _ZN12_GLOBAL__N_141elementwise_kernel_with_index_grid_strideIiZZZN2at6native15arange_cuda_outERKN3c106ScalarES6_S6_RNS1_6TensorEENKUlvE_clEvENKUlvE4_clEvEUllE_EEvT_T0_PN15function_traitsISD_E11result_typeE.num_vgpr, 8
	.set _ZN12_GLOBAL__N_141elementwise_kernel_with_index_grid_strideIiZZZN2at6native15arange_cuda_outERKN3c106ScalarES6_S6_RNS1_6TensorEENKUlvE_clEvENKUlvE4_clEvEUllE_EEvT_T0_PN15function_traitsISD_E11result_typeE.num_agpr, 0
	.set _ZN12_GLOBAL__N_141elementwise_kernel_with_index_grid_strideIiZZZN2at6native15arange_cuda_outERKN3c106ScalarES6_S6_RNS1_6TensorEENKUlvE_clEvENKUlvE4_clEvEUllE_EEvT_T0_PN15function_traitsISD_E11result_typeE.numbered_sgpr, 14
	.set _ZN12_GLOBAL__N_141elementwise_kernel_with_index_grid_strideIiZZZN2at6native15arange_cuda_outERKN3c106ScalarES6_S6_RNS1_6TensorEENKUlvE_clEvENKUlvE4_clEvEUllE_EEvT_T0_PN15function_traitsISD_E11result_typeE.num_named_barrier, 0
	.set _ZN12_GLOBAL__N_141elementwise_kernel_with_index_grid_strideIiZZZN2at6native15arange_cuda_outERKN3c106ScalarES6_S6_RNS1_6TensorEENKUlvE_clEvENKUlvE4_clEvEUllE_EEvT_T0_PN15function_traitsISD_E11result_typeE.private_seg_size, 0
	.set _ZN12_GLOBAL__N_141elementwise_kernel_with_index_grid_strideIiZZZN2at6native15arange_cuda_outERKN3c106ScalarES6_S6_RNS1_6TensorEENKUlvE_clEvENKUlvE4_clEvEUllE_EEvT_T0_PN15function_traitsISD_E11result_typeE.uses_vcc, 1
	.set _ZN12_GLOBAL__N_141elementwise_kernel_with_index_grid_strideIiZZZN2at6native15arange_cuda_outERKN3c106ScalarES6_S6_RNS1_6TensorEENKUlvE_clEvENKUlvE4_clEvEUllE_EEvT_T0_PN15function_traitsISD_E11result_typeE.uses_flat_scratch, 0
	.set _ZN12_GLOBAL__N_141elementwise_kernel_with_index_grid_strideIiZZZN2at6native15arange_cuda_outERKN3c106ScalarES6_S6_RNS1_6TensorEENKUlvE_clEvENKUlvE4_clEvEUllE_EEvT_T0_PN15function_traitsISD_E11result_typeE.has_dyn_sized_stack, 0
	.set _ZN12_GLOBAL__N_141elementwise_kernel_with_index_grid_strideIiZZZN2at6native15arange_cuda_outERKN3c106ScalarES6_S6_RNS1_6TensorEENKUlvE_clEvENKUlvE4_clEvEUllE_EEvT_T0_PN15function_traitsISD_E11result_typeE.has_recursion, 0
	.set _ZN12_GLOBAL__N_141elementwise_kernel_with_index_grid_strideIiZZZN2at6native15arange_cuda_outERKN3c106ScalarES6_S6_RNS1_6TensorEENKUlvE_clEvENKUlvE4_clEvEUllE_EEvT_T0_PN15function_traitsISD_E11result_typeE.has_indirect_call, 0
	.section	.AMDGPU.csdata,"",@progbits
; Kernel info:
; codeLenInByte = 188
; TotalNumSgprs: 18
; NumVgprs: 8
; ScratchSize: 0
; MemoryBound: 0
; FloatMode: 240
; IeeeMode: 1
; LDSByteSize: 0 bytes/workgroup (compile time only)
; SGPRBlocks: 2
; VGPRBlocks: 1
; NumSGPRsForWavesPerEU: 18
; NumVGPRsForWavesPerEU: 8
; Occupancy: 10
; WaveLimiterHint : 0
; COMPUTE_PGM_RSRC2:SCRATCH_EN: 0
; COMPUTE_PGM_RSRC2:USER_SGPR: 6
; COMPUTE_PGM_RSRC2:TRAP_HANDLER: 0
; COMPUTE_PGM_RSRC2:TGID_X_EN: 1
; COMPUTE_PGM_RSRC2:TGID_Y_EN: 0
; COMPUTE_PGM_RSRC2:TGID_Z_EN: 0
; COMPUTE_PGM_RSRC2:TIDIG_COMP_CNT: 0
	.section	.text._ZN12_GLOBAL__N_141elementwise_kernel_with_index_grid_strideIlZZZN2at6native15arange_cuda_outERKN3c106ScalarES6_S6_RNS1_6TensorEENKUlvE_clEvENKUlvE4_clEvEUllE_EEvT_T0_PN15function_traitsISD_E11result_typeE,"axG",@progbits,_ZN12_GLOBAL__N_141elementwise_kernel_with_index_grid_strideIlZZZN2at6native15arange_cuda_outERKN3c106ScalarES6_S6_RNS1_6TensorEENKUlvE_clEvENKUlvE4_clEvEUllE_EEvT_T0_PN15function_traitsISD_E11result_typeE,comdat
	.globl	_ZN12_GLOBAL__N_141elementwise_kernel_with_index_grid_strideIlZZZN2at6native15arange_cuda_outERKN3c106ScalarES6_S6_RNS1_6TensorEENKUlvE_clEvENKUlvE4_clEvEUllE_EEvT_T0_PN15function_traitsISD_E11result_typeE ; -- Begin function _ZN12_GLOBAL__N_141elementwise_kernel_with_index_grid_strideIlZZZN2at6native15arange_cuda_outERKN3c106ScalarES6_S6_RNS1_6TensorEENKUlvE_clEvENKUlvE4_clEvEUllE_EEvT_T0_PN15function_traitsISD_E11result_typeE
	.p2align	8
	.type	_ZN12_GLOBAL__N_141elementwise_kernel_with_index_grid_strideIlZZZN2at6native15arange_cuda_outERKN3c106ScalarES6_S6_RNS1_6TensorEENKUlvE_clEvENKUlvE4_clEvEUllE_EEvT_T0_PN15function_traitsISD_E11result_typeE,@function
_ZN12_GLOBAL__N_141elementwise_kernel_with_index_grid_strideIlZZZN2at6native15arange_cuda_outERKN3c106ScalarES6_S6_RNS1_6TensorEENKUlvE_clEvENKUlvE4_clEvEUllE_EEvT_T0_PN15function_traitsISD_E11result_typeE: ; @_ZN12_GLOBAL__N_141elementwise_kernel_with_index_grid_strideIlZZZN2at6native15arange_cuda_outERKN3c106ScalarES6_S6_RNS1_6TensorEENKUlvE_clEvENKUlvE4_clEvEUllE_EEvT_T0_PN15function_traitsISD_E11result_typeE
; %bb.0:
	s_load_dword s2, s[4:5], 0x2c
	s_load_dwordx8 s[8:15], s[4:5], 0x0
	s_add_u32 s0, s4, 32
	s_addc_u32 s1, s5, 0
	v_mov_b32_e32 v1, 0
	s_waitcnt lgkmcnt(0)
	s_and_b32 s2, s2, 0xffff
	v_mov_b32_e32 v2, s6
	v_mad_u64_u32 v[0:1], s[4:5], s2, v2, v[0:1]
	v_cmp_gt_i64_e32 vcc, s[8:9], v[0:1]
	s_and_saveexec_b64 s[4:5], vcc
	s_cbranch_execz .LBB73_3
; %bb.1:
	s_load_dword s0, s[0:1], 0x0
	v_lshlrev_b64 v[2:3], 3, v[0:1]
	v_mov_b32_e32 v4, s15
	v_add_co_u32_e32 v2, vcc, s14, v2
	s_waitcnt lgkmcnt(0)
	s_mul_hi_u32 s1, s2, s0
	s_mul_i32 s0, s2, s0
	v_addc_co_u32_e32 v3, vcc, v4, v3, vcc
	s_lshl_b64 s[2:3], s[0:1], 3
	v_mov_b32_e32 v4, s10
	s_mov_b64 s[4:5], 0
	v_mov_b32_e32 v5, s11
	v_mov_b32_e32 v6, s1
	;; [unrolled: 1-line block ×3, first 2 shown]
.LBB73_2:                               ; =>This Inner Loop Header: Depth=1
	v_cvt_f64_u32_e32 v[8:9], v1
	v_cvt_f64_u32_e32 v[10:11], v0
	v_add_co_u32_e32 v0, vcc, s0, v0
	v_ldexp_f64 v[8:9], v[8:9], 32
	v_addc_co_u32_e32 v1, vcc, v1, v6, vcc
	v_cmp_le_i64_e32 vcc, s[8:9], v[0:1]
	s_or_b64 s[4:5], vcc, s[4:5]
	v_add_f64 v[8:9], v[8:9], v[10:11]
	v_fma_f64 v[8:9], s[12:13], v[8:9], v[4:5]
	global_store_dwordx2 v[2:3], v[8:9], off
	v_add_co_u32_e32 v2, vcc, s2, v2
	v_addc_co_u32_e32 v3, vcc, v3, v7, vcc
	s_andn2_b64 exec, exec, s[4:5]
	s_cbranch_execnz .LBB73_2
.LBB73_3:
	s_endpgm
	.section	.rodata,"a",@progbits
	.p2align	6, 0x0
	.amdhsa_kernel _ZN12_GLOBAL__N_141elementwise_kernel_with_index_grid_strideIlZZZN2at6native15arange_cuda_outERKN3c106ScalarES6_S6_RNS1_6TensorEENKUlvE_clEvENKUlvE4_clEvEUllE_EEvT_T0_PN15function_traitsISD_E11result_typeE
		.amdhsa_group_segment_fixed_size 0
		.amdhsa_private_segment_fixed_size 0
		.amdhsa_kernarg_size 288
		.amdhsa_user_sgpr_count 6
		.amdhsa_user_sgpr_private_segment_buffer 1
		.amdhsa_user_sgpr_dispatch_ptr 0
		.amdhsa_user_sgpr_queue_ptr 0
		.amdhsa_user_sgpr_kernarg_segment_ptr 1
		.amdhsa_user_sgpr_dispatch_id 0
		.amdhsa_user_sgpr_flat_scratch_init 0
		.amdhsa_user_sgpr_private_segment_size 0
		.amdhsa_uses_dynamic_stack 0
		.amdhsa_system_sgpr_private_segment_wavefront_offset 0
		.amdhsa_system_sgpr_workgroup_id_x 1
		.amdhsa_system_sgpr_workgroup_id_y 0
		.amdhsa_system_sgpr_workgroup_id_z 0
		.amdhsa_system_sgpr_workgroup_info 0
		.amdhsa_system_vgpr_workitem_id 0
		.amdhsa_next_free_vgpr 12
		.amdhsa_next_free_sgpr 16
		.amdhsa_reserve_vcc 1
		.amdhsa_reserve_flat_scratch 0
		.amdhsa_float_round_mode_32 0
		.amdhsa_float_round_mode_16_64 0
		.amdhsa_float_denorm_mode_32 3
		.amdhsa_float_denorm_mode_16_64 3
		.amdhsa_dx10_clamp 1
		.amdhsa_ieee_mode 1
		.amdhsa_fp16_overflow 0
		.amdhsa_exception_fp_ieee_invalid_op 0
		.amdhsa_exception_fp_denorm_src 0
		.amdhsa_exception_fp_ieee_div_zero 0
		.amdhsa_exception_fp_ieee_overflow 0
		.amdhsa_exception_fp_ieee_underflow 0
		.amdhsa_exception_fp_ieee_inexact 0
		.amdhsa_exception_int_div_zero 0
	.end_amdhsa_kernel
	.section	.text._ZN12_GLOBAL__N_141elementwise_kernel_with_index_grid_strideIlZZZN2at6native15arange_cuda_outERKN3c106ScalarES6_S6_RNS1_6TensorEENKUlvE_clEvENKUlvE4_clEvEUllE_EEvT_T0_PN15function_traitsISD_E11result_typeE,"axG",@progbits,_ZN12_GLOBAL__N_141elementwise_kernel_with_index_grid_strideIlZZZN2at6native15arange_cuda_outERKN3c106ScalarES6_S6_RNS1_6TensorEENKUlvE_clEvENKUlvE4_clEvEUllE_EEvT_T0_PN15function_traitsISD_E11result_typeE,comdat
.Lfunc_end73:
	.size	_ZN12_GLOBAL__N_141elementwise_kernel_with_index_grid_strideIlZZZN2at6native15arange_cuda_outERKN3c106ScalarES6_S6_RNS1_6TensorEENKUlvE_clEvENKUlvE4_clEvEUllE_EEvT_T0_PN15function_traitsISD_E11result_typeE, .Lfunc_end73-_ZN12_GLOBAL__N_141elementwise_kernel_with_index_grid_strideIlZZZN2at6native15arange_cuda_outERKN3c106ScalarES6_S6_RNS1_6TensorEENKUlvE_clEvENKUlvE4_clEvEUllE_EEvT_T0_PN15function_traitsISD_E11result_typeE
                                        ; -- End function
	.set _ZN12_GLOBAL__N_141elementwise_kernel_with_index_grid_strideIlZZZN2at6native15arange_cuda_outERKN3c106ScalarES6_S6_RNS1_6TensorEENKUlvE_clEvENKUlvE4_clEvEUllE_EEvT_T0_PN15function_traitsISD_E11result_typeE.num_vgpr, 12
	.set _ZN12_GLOBAL__N_141elementwise_kernel_with_index_grid_strideIlZZZN2at6native15arange_cuda_outERKN3c106ScalarES6_S6_RNS1_6TensorEENKUlvE_clEvENKUlvE4_clEvEUllE_EEvT_T0_PN15function_traitsISD_E11result_typeE.num_agpr, 0
	.set _ZN12_GLOBAL__N_141elementwise_kernel_with_index_grid_strideIlZZZN2at6native15arange_cuda_outERKN3c106ScalarES6_S6_RNS1_6TensorEENKUlvE_clEvENKUlvE4_clEvEUllE_EEvT_T0_PN15function_traitsISD_E11result_typeE.numbered_sgpr, 16
	.set _ZN12_GLOBAL__N_141elementwise_kernel_with_index_grid_strideIlZZZN2at6native15arange_cuda_outERKN3c106ScalarES6_S6_RNS1_6TensorEENKUlvE_clEvENKUlvE4_clEvEUllE_EEvT_T0_PN15function_traitsISD_E11result_typeE.num_named_barrier, 0
	.set _ZN12_GLOBAL__N_141elementwise_kernel_with_index_grid_strideIlZZZN2at6native15arange_cuda_outERKN3c106ScalarES6_S6_RNS1_6TensorEENKUlvE_clEvENKUlvE4_clEvEUllE_EEvT_T0_PN15function_traitsISD_E11result_typeE.private_seg_size, 0
	.set _ZN12_GLOBAL__N_141elementwise_kernel_with_index_grid_strideIlZZZN2at6native15arange_cuda_outERKN3c106ScalarES6_S6_RNS1_6TensorEENKUlvE_clEvENKUlvE4_clEvEUllE_EEvT_T0_PN15function_traitsISD_E11result_typeE.uses_vcc, 1
	.set _ZN12_GLOBAL__N_141elementwise_kernel_with_index_grid_strideIlZZZN2at6native15arange_cuda_outERKN3c106ScalarES6_S6_RNS1_6TensorEENKUlvE_clEvENKUlvE4_clEvEUllE_EEvT_T0_PN15function_traitsISD_E11result_typeE.uses_flat_scratch, 0
	.set _ZN12_GLOBAL__N_141elementwise_kernel_with_index_grid_strideIlZZZN2at6native15arange_cuda_outERKN3c106ScalarES6_S6_RNS1_6TensorEENKUlvE_clEvENKUlvE4_clEvEUllE_EEvT_T0_PN15function_traitsISD_E11result_typeE.has_dyn_sized_stack, 0
	.set _ZN12_GLOBAL__N_141elementwise_kernel_with_index_grid_strideIlZZZN2at6native15arange_cuda_outERKN3c106ScalarES6_S6_RNS1_6TensorEENKUlvE_clEvENKUlvE4_clEvEUllE_EEvT_T0_PN15function_traitsISD_E11result_typeE.has_recursion, 0
	.set _ZN12_GLOBAL__N_141elementwise_kernel_with_index_grid_strideIlZZZN2at6native15arange_cuda_outERKN3c106ScalarES6_S6_RNS1_6TensorEENKUlvE_clEvENKUlvE4_clEvEUllE_EEvT_T0_PN15function_traitsISD_E11result_typeE.has_indirect_call, 0
	.section	.AMDGPU.csdata,"",@progbits
; Kernel info:
; codeLenInByte = 204
; TotalNumSgprs: 20
; NumVgprs: 12
; ScratchSize: 0
; MemoryBound: 0
; FloatMode: 240
; IeeeMode: 1
; LDSByteSize: 0 bytes/workgroup (compile time only)
; SGPRBlocks: 2
; VGPRBlocks: 2
; NumSGPRsForWavesPerEU: 20
; NumVGPRsForWavesPerEU: 12
; Occupancy: 10
; WaveLimiterHint : 0
; COMPUTE_PGM_RSRC2:SCRATCH_EN: 0
; COMPUTE_PGM_RSRC2:USER_SGPR: 6
; COMPUTE_PGM_RSRC2:TRAP_HANDLER: 0
; COMPUTE_PGM_RSRC2:TGID_X_EN: 1
; COMPUTE_PGM_RSRC2:TGID_Y_EN: 0
; COMPUTE_PGM_RSRC2:TGID_Z_EN: 0
; COMPUTE_PGM_RSRC2:TIDIG_COMP_CNT: 0
	.section	.text._ZN12_GLOBAL__N_141elementwise_kernel_with_index_grid_strideIiZZZN2at6native15arange_cuda_outERKN3c106ScalarES6_S6_RNS1_6TensorEENKUlvE_clEvENKUlvE5_clEvEUllE_EEvT_T0_PN15function_traitsISD_E11result_typeE,"axG",@progbits,_ZN12_GLOBAL__N_141elementwise_kernel_with_index_grid_strideIiZZZN2at6native15arange_cuda_outERKN3c106ScalarES6_S6_RNS1_6TensorEENKUlvE_clEvENKUlvE5_clEvEUllE_EEvT_T0_PN15function_traitsISD_E11result_typeE,comdat
	.globl	_ZN12_GLOBAL__N_141elementwise_kernel_with_index_grid_strideIiZZZN2at6native15arange_cuda_outERKN3c106ScalarES6_S6_RNS1_6TensorEENKUlvE_clEvENKUlvE5_clEvEUllE_EEvT_T0_PN15function_traitsISD_E11result_typeE ; -- Begin function _ZN12_GLOBAL__N_141elementwise_kernel_with_index_grid_strideIiZZZN2at6native15arange_cuda_outERKN3c106ScalarES6_S6_RNS1_6TensorEENKUlvE_clEvENKUlvE5_clEvEUllE_EEvT_T0_PN15function_traitsISD_E11result_typeE
	.p2align	8
	.type	_ZN12_GLOBAL__N_141elementwise_kernel_with_index_grid_strideIiZZZN2at6native15arange_cuda_outERKN3c106ScalarES6_S6_RNS1_6TensorEENKUlvE_clEvENKUlvE5_clEvEUllE_EEvT_T0_PN15function_traitsISD_E11result_typeE,@function
_ZN12_GLOBAL__N_141elementwise_kernel_with_index_grid_strideIiZZZN2at6native15arange_cuda_outERKN3c106ScalarES6_S6_RNS1_6TensorEENKUlvE_clEvENKUlvE5_clEvEUllE_EEvT_T0_PN15function_traitsISD_E11result_typeE: ; @_ZN12_GLOBAL__N_141elementwise_kernel_with_index_grid_strideIiZZZN2at6native15arange_cuda_outERKN3c106ScalarES6_S6_RNS1_6TensorEENKUlvE_clEvENKUlvE5_clEvEUllE_EEvT_T0_PN15function_traitsISD_E11result_typeE
; %bb.0:
	s_load_dword s7, s[4:5], 0x24
	s_load_dwordx4 s[0:3], s[4:5], 0x0
	s_add_u32 s8, s4, 24
	s_addc_u32 s9, s5, 0
	s_waitcnt lgkmcnt(0)
	s_and_b32 s3, s7, 0xffff
	s_mul_i32 s6, s6, s3
	v_add_u32_e32 v0, s6, v0
	v_cmp_gt_i32_e32 vcc, s0, v0
	s_and_saveexec_b64 s[6:7], vcc
	s_cbranch_execz .LBB74_3
; %bb.1:
	s_load_dword s10, s[8:9], 0x0
	s_load_dwordx2 s[6:7], s[4:5], 0x10
	v_ashrrev_i32_e32 v1, 31, v0
	v_lshlrev_b64 v[1:2], 2, v[0:1]
	s_mov_b64 s[8:9], 0
	s_waitcnt lgkmcnt(0)
	s_mul_i32 s4, s10, s3
	s_ashr_i32 s5, s4, 31
	v_mov_b32_e32 v3, s7
	v_add_co_u32_e32 v1, vcc, s6, v1
	s_lshl_b64 s[6:7], s[4:5], 2
	v_addc_co_u32_e32 v2, vcc, v3, v2, vcc
	v_mov_b32_e32 v3, s1
	v_mov_b32_e32 v4, s7
.LBB74_2:                               ; =>This Inner Loop Header: Depth=1
	v_cvt_f32_i32_e32 v5, v0
	v_add_u32_e32 v0, s4, v0
	v_cmp_le_i32_e32 vcc, s0, v0
	s_or_b64 s[8:9], vcc, s[8:9]
	v_fma_f32 v5, s2, v5, v3
	global_store_dword v[1:2], v5, off
	v_add_co_u32_e32 v1, vcc, s6, v1
	v_addc_co_u32_e32 v2, vcc, v2, v4, vcc
	s_andn2_b64 exec, exec, s[8:9]
	s_cbranch_execnz .LBB74_2
.LBB74_3:
	s_endpgm
	.section	.rodata,"a",@progbits
	.p2align	6, 0x0
	.amdhsa_kernel _ZN12_GLOBAL__N_141elementwise_kernel_with_index_grid_strideIiZZZN2at6native15arange_cuda_outERKN3c106ScalarES6_S6_RNS1_6TensorEENKUlvE_clEvENKUlvE5_clEvEUllE_EEvT_T0_PN15function_traitsISD_E11result_typeE
		.amdhsa_group_segment_fixed_size 0
		.amdhsa_private_segment_fixed_size 0
		.amdhsa_kernarg_size 280
		.amdhsa_user_sgpr_count 6
		.amdhsa_user_sgpr_private_segment_buffer 1
		.amdhsa_user_sgpr_dispatch_ptr 0
		.amdhsa_user_sgpr_queue_ptr 0
		.amdhsa_user_sgpr_kernarg_segment_ptr 1
		.amdhsa_user_sgpr_dispatch_id 0
		.amdhsa_user_sgpr_flat_scratch_init 0
		.amdhsa_user_sgpr_private_segment_size 0
		.amdhsa_uses_dynamic_stack 0
		.amdhsa_system_sgpr_private_segment_wavefront_offset 0
		.amdhsa_system_sgpr_workgroup_id_x 1
		.amdhsa_system_sgpr_workgroup_id_y 0
		.amdhsa_system_sgpr_workgroup_id_z 0
		.amdhsa_system_sgpr_workgroup_info 0
		.amdhsa_system_vgpr_workitem_id 0
		.amdhsa_next_free_vgpr 6
		.amdhsa_next_free_sgpr 11
		.amdhsa_reserve_vcc 1
		.amdhsa_reserve_flat_scratch 0
		.amdhsa_float_round_mode_32 0
		.amdhsa_float_round_mode_16_64 0
		.amdhsa_float_denorm_mode_32 3
		.amdhsa_float_denorm_mode_16_64 3
		.amdhsa_dx10_clamp 1
		.amdhsa_ieee_mode 1
		.amdhsa_fp16_overflow 0
		.amdhsa_exception_fp_ieee_invalid_op 0
		.amdhsa_exception_fp_denorm_src 0
		.amdhsa_exception_fp_ieee_div_zero 0
		.amdhsa_exception_fp_ieee_overflow 0
		.amdhsa_exception_fp_ieee_underflow 0
		.amdhsa_exception_fp_ieee_inexact 0
		.amdhsa_exception_int_div_zero 0
	.end_amdhsa_kernel
	.section	.text._ZN12_GLOBAL__N_141elementwise_kernel_with_index_grid_strideIiZZZN2at6native15arange_cuda_outERKN3c106ScalarES6_S6_RNS1_6TensorEENKUlvE_clEvENKUlvE5_clEvEUllE_EEvT_T0_PN15function_traitsISD_E11result_typeE,"axG",@progbits,_ZN12_GLOBAL__N_141elementwise_kernel_with_index_grid_strideIiZZZN2at6native15arange_cuda_outERKN3c106ScalarES6_S6_RNS1_6TensorEENKUlvE_clEvENKUlvE5_clEvEUllE_EEvT_T0_PN15function_traitsISD_E11result_typeE,comdat
.Lfunc_end74:
	.size	_ZN12_GLOBAL__N_141elementwise_kernel_with_index_grid_strideIiZZZN2at6native15arange_cuda_outERKN3c106ScalarES6_S6_RNS1_6TensorEENKUlvE_clEvENKUlvE5_clEvEUllE_EEvT_T0_PN15function_traitsISD_E11result_typeE, .Lfunc_end74-_ZN12_GLOBAL__N_141elementwise_kernel_with_index_grid_strideIiZZZN2at6native15arange_cuda_outERKN3c106ScalarES6_S6_RNS1_6TensorEENKUlvE_clEvENKUlvE5_clEvEUllE_EEvT_T0_PN15function_traitsISD_E11result_typeE
                                        ; -- End function
	.set _ZN12_GLOBAL__N_141elementwise_kernel_with_index_grid_strideIiZZZN2at6native15arange_cuda_outERKN3c106ScalarES6_S6_RNS1_6TensorEENKUlvE_clEvENKUlvE5_clEvEUllE_EEvT_T0_PN15function_traitsISD_E11result_typeE.num_vgpr, 6
	.set _ZN12_GLOBAL__N_141elementwise_kernel_with_index_grid_strideIiZZZN2at6native15arange_cuda_outERKN3c106ScalarES6_S6_RNS1_6TensorEENKUlvE_clEvENKUlvE5_clEvEUllE_EEvT_T0_PN15function_traitsISD_E11result_typeE.num_agpr, 0
	.set _ZN12_GLOBAL__N_141elementwise_kernel_with_index_grid_strideIiZZZN2at6native15arange_cuda_outERKN3c106ScalarES6_S6_RNS1_6TensorEENKUlvE_clEvENKUlvE5_clEvEUllE_EEvT_T0_PN15function_traitsISD_E11result_typeE.numbered_sgpr, 11
	.set _ZN12_GLOBAL__N_141elementwise_kernel_with_index_grid_strideIiZZZN2at6native15arange_cuda_outERKN3c106ScalarES6_S6_RNS1_6TensorEENKUlvE_clEvENKUlvE5_clEvEUllE_EEvT_T0_PN15function_traitsISD_E11result_typeE.num_named_barrier, 0
	.set _ZN12_GLOBAL__N_141elementwise_kernel_with_index_grid_strideIiZZZN2at6native15arange_cuda_outERKN3c106ScalarES6_S6_RNS1_6TensorEENKUlvE_clEvENKUlvE5_clEvEUllE_EEvT_T0_PN15function_traitsISD_E11result_typeE.private_seg_size, 0
	.set _ZN12_GLOBAL__N_141elementwise_kernel_with_index_grid_strideIiZZZN2at6native15arange_cuda_outERKN3c106ScalarES6_S6_RNS1_6TensorEENKUlvE_clEvENKUlvE5_clEvEUllE_EEvT_T0_PN15function_traitsISD_E11result_typeE.uses_vcc, 1
	.set _ZN12_GLOBAL__N_141elementwise_kernel_with_index_grid_strideIiZZZN2at6native15arange_cuda_outERKN3c106ScalarES6_S6_RNS1_6TensorEENKUlvE_clEvENKUlvE5_clEvEUllE_EEvT_T0_PN15function_traitsISD_E11result_typeE.uses_flat_scratch, 0
	.set _ZN12_GLOBAL__N_141elementwise_kernel_with_index_grid_strideIiZZZN2at6native15arange_cuda_outERKN3c106ScalarES6_S6_RNS1_6TensorEENKUlvE_clEvENKUlvE5_clEvEUllE_EEvT_T0_PN15function_traitsISD_E11result_typeE.has_dyn_sized_stack, 0
	.set _ZN12_GLOBAL__N_141elementwise_kernel_with_index_grid_strideIiZZZN2at6native15arange_cuda_outERKN3c106ScalarES6_S6_RNS1_6TensorEENKUlvE_clEvENKUlvE5_clEvEUllE_EEvT_T0_PN15function_traitsISD_E11result_typeE.has_recursion, 0
	.set _ZN12_GLOBAL__N_141elementwise_kernel_with_index_grid_strideIiZZZN2at6native15arange_cuda_outERKN3c106ScalarES6_S6_RNS1_6TensorEENKUlvE_clEvENKUlvE5_clEvEUllE_EEvT_T0_PN15function_traitsISD_E11result_typeE.has_indirect_call, 0
	.section	.AMDGPU.csdata,"",@progbits
; Kernel info:
; codeLenInByte = 176
; TotalNumSgprs: 15
; NumVgprs: 6
; ScratchSize: 0
; MemoryBound: 0
; FloatMode: 240
; IeeeMode: 1
; LDSByteSize: 0 bytes/workgroup (compile time only)
; SGPRBlocks: 1
; VGPRBlocks: 1
; NumSGPRsForWavesPerEU: 15
; NumVGPRsForWavesPerEU: 6
; Occupancy: 10
; WaveLimiterHint : 0
; COMPUTE_PGM_RSRC2:SCRATCH_EN: 0
; COMPUTE_PGM_RSRC2:USER_SGPR: 6
; COMPUTE_PGM_RSRC2:TRAP_HANDLER: 0
; COMPUTE_PGM_RSRC2:TGID_X_EN: 1
; COMPUTE_PGM_RSRC2:TGID_Y_EN: 0
; COMPUTE_PGM_RSRC2:TGID_Z_EN: 0
; COMPUTE_PGM_RSRC2:TIDIG_COMP_CNT: 0
	.section	.text._ZN12_GLOBAL__N_141elementwise_kernel_with_index_grid_strideIlZZZN2at6native15arange_cuda_outERKN3c106ScalarES6_S6_RNS1_6TensorEENKUlvE_clEvENKUlvE5_clEvEUllE_EEvT_T0_PN15function_traitsISD_E11result_typeE,"axG",@progbits,_ZN12_GLOBAL__N_141elementwise_kernel_with_index_grid_strideIlZZZN2at6native15arange_cuda_outERKN3c106ScalarES6_S6_RNS1_6TensorEENKUlvE_clEvENKUlvE5_clEvEUllE_EEvT_T0_PN15function_traitsISD_E11result_typeE,comdat
	.globl	_ZN12_GLOBAL__N_141elementwise_kernel_with_index_grid_strideIlZZZN2at6native15arange_cuda_outERKN3c106ScalarES6_S6_RNS1_6TensorEENKUlvE_clEvENKUlvE5_clEvEUllE_EEvT_T0_PN15function_traitsISD_E11result_typeE ; -- Begin function _ZN12_GLOBAL__N_141elementwise_kernel_with_index_grid_strideIlZZZN2at6native15arange_cuda_outERKN3c106ScalarES6_S6_RNS1_6TensorEENKUlvE_clEvENKUlvE5_clEvEUllE_EEvT_T0_PN15function_traitsISD_E11result_typeE
	.p2align	8
	.type	_ZN12_GLOBAL__N_141elementwise_kernel_with_index_grid_strideIlZZZN2at6native15arange_cuda_outERKN3c106ScalarES6_S6_RNS1_6TensorEENKUlvE_clEvENKUlvE5_clEvEUllE_EEvT_T0_PN15function_traitsISD_E11result_typeE,@function
_ZN12_GLOBAL__N_141elementwise_kernel_with_index_grid_strideIlZZZN2at6native15arange_cuda_outERKN3c106ScalarES6_S6_RNS1_6TensorEENKUlvE_clEvENKUlvE5_clEvEUllE_EEvT_T0_PN15function_traitsISD_E11result_typeE: ; @_ZN12_GLOBAL__N_141elementwise_kernel_with_index_grid_strideIlZZZN2at6native15arange_cuda_outERKN3c106ScalarES6_S6_RNS1_6TensorEENKUlvE_clEvENKUlvE5_clEvEUllE_EEvT_T0_PN15function_traitsISD_E11result_typeE
; %bb.0:
	s_load_dword s0, s[4:5], 0x24
	s_load_dwordx2 s[8:9], s[4:5], 0x0
	s_add_u32 s10, s4, 24
	s_addc_u32 s11, s5, 0
	v_mov_b32_e32 v1, 0
	s_waitcnt lgkmcnt(0)
	s_and_b32 s7, s0, 0xffff
	v_mov_b32_e32 v2, s6
	v_mad_u64_u32 v[0:1], s[0:1], s7, v2, v[0:1]
	v_cmp_gt_i64_e32 vcc, s[8:9], v[0:1]
	s_and_saveexec_b64 s[0:1], vcc
	s_cbranch_execz .LBB75_3
; %bb.1:
	s_load_dword s6, s[10:11], 0x0
	s_load_dwordx4 s[0:3], s[4:5], 0x8
	v_lshlrev_b64 v[2:3], 2, v[0:1]
	s_waitcnt lgkmcnt(0)
	s_mul_hi_u32 s5, s7, s6
	s_mul_i32 s4, s7, s6
	v_mov_b32_e32 v4, s3
	v_add_co_u32_e32 v2, vcc, s2, v2
	s_lshl_b64 s[2:3], s[4:5], 2
	v_addc_co_u32_e32 v3, vcc, v4, v3, vcc
	s_mov_b64 s[6:7], 0
	v_mov_b32_e32 v4, s0
	v_mov_b32_e32 v5, s5
	v_mov_b32_e32 v6, s3
.LBB75_2:                               ; =>This Inner Loop Header: Depth=1
	v_ffbh_u32_e32 v7, v1
	v_min_u32_e32 v9, 32, v7
	v_lshlrev_b64 v[7:8], v9, v[0:1]
	v_add_co_u32_e32 v0, vcc, s4, v0
	v_min_u32_e32 v7, 1, v7
	v_or_b32_e32 v7, v8, v7
	v_cvt_f32_u32_e32 v7, v7
	v_sub_u32_e32 v9, 32, v9
	v_addc_co_u32_e32 v1, vcc, v1, v5, vcc
	v_cmp_le_i64_e32 vcc, s[8:9], v[0:1]
	v_ldexp_f32 v7, v7, v9
	v_fma_f32 v7, s1, v7, v4
	s_or_b64 s[6:7], vcc, s[6:7]
	global_store_dword v[2:3], v7, off
	v_add_co_u32_e32 v2, vcc, s2, v2
	v_addc_co_u32_e32 v3, vcc, v3, v6, vcc
	s_andn2_b64 exec, exec, s[6:7]
	s_cbranch_execnz .LBB75_2
.LBB75_3:
	s_endpgm
	.section	.rodata,"a",@progbits
	.p2align	6, 0x0
	.amdhsa_kernel _ZN12_GLOBAL__N_141elementwise_kernel_with_index_grid_strideIlZZZN2at6native15arange_cuda_outERKN3c106ScalarES6_S6_RNS1_6TensorEENKUlvE_clEvENKUlvE5_clEvEUllE_EEvT_T0_PN15function_traitsISD_E11result_typeE
		.amdhsa_group_segment_fixed_size 0
		.amdhsa_private_segment_fixed_size 0
		.amdhsa_kernarg_size 280
		.amdhsa_user_sgpr_count 6
		.amdhsa_user_sgpr_private_segment_buffer 1
		.amdhsa_user_sgpr_dispatch_ptr 0
		.amdhsa_user_sgpr_queue_ptr 0
		.amdhsa_user_sgpr_kernarg_segment_ptr 1
		.amdhsa_user_sgpr_dispatch_id 0
		.amdhsa_user_sgpr_flat_scratch_init 0
		.amdhsa_user_sgpr_private_segment_size 0
		.amdhsa_uses_dynamic_stack 0
		.amdhsa_system_sgpr_private_segment_wavefront_offset 0
		.amdhsa_system_sgpr_workgroup_id_x 1
		.amdhsa_system_sgpr_workgroup_id_y 0
		.amdhsa_system_sgpr_workgroup_id_z 0
		.amdhsa_system_sgpr_workgroup_info 0
		.amdhsa_system_vgpr_workitem_id 0
		.amdhsa_next_free_vgpr 10
		.amdhsa_next_free_sgpr 12
		.amdhsa_reserve_vcc 1
		.amdhsa_reserve_flat_scratch 0
		.amdhsa_float_round_mode_32 0
		.amdhsa_float_round_mode_16_64 0
		.amdhsa_float_denorm_mode_32 3
		.amdhsa_float_denorm_mode_16_64 3
		.amdhsa_dx10_clamp 1
		.amdhsa_ieee_mode 1
		.amdhsa_fp16_overflow 0
		.amdhsa_exception_fp_ieee_invalid_op 0
		.amdhsa_exception_fp_denorm_src 0
		.amdhsa_exception_fp_ieee_div_zero 0
		.amdhsa_exception_fp_ieee_overflow 0
		.amdhsa_exception_fp_ieee_underflow 0
		.amdhsa_exception_fp_ieee_inexact 0
		.amdhsa_exception_int_div_zero 0
	.end_amdhsa_kernel
	.section	.text._ZN12_GLOBAL__N_141elementwise_kernel_with_index_grid_strideIlZZZN2at6native15arange_cuda_outERKN3c106ScalarES6_S6_RNS1_6TensorEENKUlvE_clEvENKUlvE5_clEvEUllE_EEvT_T0_PN15function_traitsISD_E11result_typeE,"axG",@progbits,_ZN12_GLOBAL__N_141elementwise_kernel_with_index_grid_strideIlZZZN2at6native15arange_cuda_outERKN3c106ScalarES6_S6_RNS1_6TensorEENKUlvE_clEvENKUlvE5_clEvEUllE_EEvT_T0_PN15function_traitsISD_E11result_typeE,comdat
.Lfunc_end75:
	.size	_ZN12_GLOBAL__N_141elementwise_kernel_with_index_grid_strideIlZZZN2at6native15arange_cuda_outERKN3c106ScalarES6_S6_RNS1_6TensorEENKUlvE_clEvENKUlvE5_clEvEUllE_EEvT_T0_PN15function_traitsISD_E11result_typeE, .Lfunc_end75-_ZN12_GLOBAL__N_141elementwise_kernel_with_index_grid_strideIlZZZN2at6native15arange_cuda_outERKN3c106ScalarES6_S6_RNS1_6TensorEENKUlvE_clEvENKUlvE5_clEvEUllE_EEvT_T0_PN15function_traitsISD_E11result_typeE
                                        ; -- End function
	.set _ZN12_GLOBAL__N_141elementwise_kernel_with_index_grid_strideIlZZZN2at6native15arange_cuda_outERKN3c106ScalarES6_S6_RNS1_6TensorEENKUlvE_clEvENKUlvE5_clEvEUllE_EEvT_T0_PN15function_traitsISD_E11result_typeE.num_vgpr, 10
	.set _ZN12_GLOBAL__N_141elementwise_kernel_with_index_grid_strideIlZZZN2at6native15arange_cuda_outERKN3c106ScalarES6_S6_RNS1_6TensorEENKUlvE_clEvENKUlvE5_clEvEUllE_EEvT_T0_PN15function_traitsISD_E11result_typeE.num_agpr, 0
	.set _ZN12_GLOBAL__N_141elementwise_kernel_with_index_grid_strideIlZZZN2at6native15arange_cuda_outERKN3c106ScalarES6_S6_RNS1_6TensorEENKUlvE_clEvENKUlvE5_clEvEUllE_EEvT_T0_PN15function_traitsISD_E11result_typeE.numbered_sgpr, 12
	.set _ZN12_GLOBAL__N_141elementwise_kernel_with_index_grid_strideIlZZZN2at6native15arange_cuda_outERKN3c106ScalarES6_S6_RNS1_6TensorEENKUlvE_clEvENKUlvE5_clEvEUllE_EEvT_T0_PN15function_traitsISD_E11result_typeE.num_named_barrier, 0
	.set _ZN12_GLOBAL__N_141elementwise_kernel_with_index_grid_strideIlZZZN2at6native15arange_cuda_outERKN3c106ScalarES6_S6_RNS1_6TensorEENKUlvE_clEvENKUlvE5_clEvEUllE_EEvT_T0_PN15function_traitsISD_E11result_typeE.private_seg_size, 0
	.set _ZN12_GLOBAL__N_141elementwise_kernel_with_index_grid_strideIlZZZN2at6native15arange_cuda_outERKN3c106ScalarES6_S6_RNS1_6TensorEENKUlvE_clEvENKUlvE5_clEvEUllE_EEvT_T0_PN15function_traitsISD_E11result_typeE.uses_vcc, 1
	.set _ZN12_GLOBAL__N_141elementwise_kernel_with_index_grid_strideIlZZZN2at6native15arange_cuda_outERKN3c106ScalarES6_S6_RNS1_6TensorEENKUlvE_clEvENKUlvE5_clEvEUllE_EEvT_T0_PN15function_traitsISD_E11result_typeE.uses_flat_scratch, 0
	.set _ZN12_GLOBAL__N_141elementwise_kernel_with_index_grid_strideIlZZZN2at6native15arange_cuda_outERKN3c106ScalarES6_S6_RNS1_6TensorEENKUlvE_clEvENKUlvE5_clEvEUllE_EEvT_T0_PN15function_traitsISD_E11result_typeE.has_dyn_sized_stack, 0
	.set _ZN12_GLOBAL__N_141elementwise_kernel_with_index_grid_strideIlZZZN2at6native15arange_cuda_outERKN3c106ScalarES6_S6_RNS1_6TensorEENKUlvE_clEvENKUlvE5_clEvEUllE_EEvT_T0_PN15function_traitsISD_E11result_typeE.has_recursion, 0
	.set _ZN12_GLOBAL__N_141elementwise_kernel_with_index_grid_strideIlZZZN2at6native15arange_cuda_outERKN3c106ScalarES6_S6_RNS1_6TensorEENKUlvE_clEvENKUlvE5_clEvEUllE_EEvT_T0_PN15function_traitsISD_E11result_typeE.has_indirect_call, 0
	.section	.AMDGPU.csdata,"",@progbits
; Kernel info:
; codeLenInByte = 224
; TotalNumSgprs: 16
; NumVgprs: 10
; ScratchSize: 0
; MemoryBound: 0
; FloatMode: 240
; IeeeMode: 1
; LDSByteSize: 0 bytes/workgroup (compile time only)
; SGPRBlocks: 1
; VGPRBlocks: 2
; NumSGPRsForWavesPerEU: 16
; NumVGPRsForWavesPerEU: 10
; Occupancy: 10
; WaveLimiterHint : 0
; COMPUTE_PGM_RSRC2:SCRATCH_EN: 0
; COMPUTE_PGM_RSRC2:USER_SGPR: 6
; COMPUTE_PGM_RSRC2:TRAP_HANDLER: 0
; COMPUTE_PGM_RSRC2:TGID_X_EN: 1
; COMPUTE_PGM_RSRC2:TGID_Y_EN: 0
; COMPUTE_PGM_RSRC2:TGID_Z_EN: 0
; COMPUTE_PGM_RSRC2:TIDIG_COMP_CNT: 0
	.section	.text._ZN12_GLOBAL__N_141elementwise_kernel_with_index_grid_strideIiZZZN2at6native15arange_cuda_outERKN3c106ScalarES6_S6_RNS1_6TensorEENKUlvE_clEvENKUlvE6_clEvEUllE_EEvT_T0_PN15function_traitsISD_E11result_typeE,"axG",@progbits,_ZN12_GLOBAL__N_141elementwise_kernel_with_index_grid_strideIiZZZN2at6native15arange_cuda_outERKN3c106ScalarES6_S6_RNS1_6TensorEENKUlvE_clEvENKUlvE6_clEvEUllE_EEvT_T0_PN15function_traitsISD_E11result_typeE,comdat
	.globl	_ZN12_GLOBAL__N_141elementwise_kernel_with_index_grid_strideIiZZZN2at6native15arange_cuda_outERKN3c106ScalarES6_S6_RNS1_6TensorEENKUlvE_clEvENKUlvE6_clEvEUllE_EEvT_T0_PN15function_traitsISD_E11result_typeE ; -- Begin function _ZN12_GLOBAL__N_141elementwise_kernel_with_index_grid_strideIiZZZN2at6native15arange_cuda_outERKN3c106ScalarES6_S6_RNS1_6TensorEENKUlvE_clEvENKUlvE6_clEvEUllE_EEvT_T0_PN15function_traitsISD_E11result_typeE
	.p2align	8
	.type	_ZN12_GLOBAL__N_141elementwise_kernel_with_index_grid_strideIiZZZN2at6native15arange_cuda_outERKN3c106ScalarES6_S6_RNS1_6TensorEENKUlvE_clEvENKUlvE6_clEvEUllE_EEvT_T0_PN15function_traitsISD_E11result_typeE,@function
_ZN12_GLOBAL__N_141elementwise_kernel_with_index_grid_strideIiZZZN2at6native15arange_cuda_outERKN3c106ScalarES6_S6_RNS1_6TensorEENKUlvE_clEvENKUlvE6_clEvEUllE_EEvT_T0_PN15function_traitsISD_E11result_typeE: ; @_ZN12_GLOBAL__N_141elementwise_kernel_with_index_grid_strideIiZZZN2at6native15arange_cuda_outERKN3c106ScalarES6_S6_RNS1_6TensorEENKUlvE_clEvENKUlvE6_clEvEUllE_EEvT_T0_PN15function_traitsISD_E11result_typeE
; %bb.0:
	s_load_dword s2, s[4:5], 0x24
	s_load_dwordx4 s[8:11], s[4:5], 0x0
	s_add_u32 s0, s4, 24
	s_addc_u32 s1, s5, 0
	s_waitcnt lgkmcnt(0)
	s_and_b32 s3, s2, 0xffff
	s_mul_i32 s2, s6, s3
	v_add_u32_e32 v1, s2, v0
	v_cmp_gt_i32_e32 vcc, s8, v1
	s_and_saveexec_b64 s[12:13], vcc
	s_cbranch_execz .LBB76_8
; %bb.1:
	s_load_dword s0, s[0:1], 0x0
	s_waitcnt lgkmcnt(0)
	s_mul_i32 s2, s0, s3
	v_cvt_f32_u32_e32 v2, s2
	s_sub_i32 s1, 0, s2
	s_add_i32 s0, s6, s0
	s_mul_i32 s0, s0, s3
	v_rcp_iflag_f32_e32 v2, v2
	v_add_u32_e32 v4, s0, v0
	v_mov_b32_e32 v5, s0
	v_cmp_gt_i32_e32 vcc, s8, v4
	v_mul_f32_e32 v2, 0x4f7ffffe, v2
	v_cvt_u32_f32_e32 v2, v2
	v_max_i32_e32 v6, s8, v4
	s_load_dwordx2 s[4:5], s[4:5], 0x10
	s_mov_b64 s[6:7], -1
	v_mul_lo_u32 v3, s1, v2
	v_addc_co_u32_e64 v0, s[0:1], v0, v5, vcc
	v_sub_u32_e32 v0, v6, v0
	v_mul_hi_u32 v3, v2, v3
	v_add_u32_e32 v2, v2, v3
	v_mul_hi_u32 v2, v0, v2
	v_mul_lo_u32 v3, v2, s2
	v_add_u32_e32 v4, 1, v2
	v_sub_u32_e32 v0, v0, v3
	v_cmp_le_u32_e64 s[0:1], s2, v0
	v_subrev_u32_e32 v3, s2, v0
	v_cndmask_b32_e64 v2, v2, v4, s[0:1]
	v_cndmask_b32_e64 v0, v0, v3, s[0:1]
	v_add_u32_e32 v3, 1, v2
	v_cmp_le_u32_e64 s[0:1], s2, v0
	v_cndmask_b32_e64 v0, v2, v3, s[0:1]
	v_addc_co_u32_e32 v0, vcc, 1, v0, vcc
	v_cmp_lt_u32_e32 vcc, 1, v0
	s_and_saveexec_b64 s[0:1], vcc
	s_cbranch_execz .LBB76_5
; %bb.2:
	v_add_u32_e32 v2, s2, v1
	v_and_b32_e32 v4, -2, v0
	s_lshl_b32 s11, s2, 1
	v_mov_b32_e32 v3, v2
	s_mov_b32 s3, s10
	s_mov_b32 s12, s11
	s_mov_b64 s[6:7], 0
	v_mov_b32_e32 v5, s9
	v_mov_b32_e32 v6, s9
	s_waitcnt lgkmcnt(0)
	v_mov_b32_e32 v7, s5
	v_mov_b32_e32 v8, v4
	;; [unrolled: 1-line block ×3, first 2 shown]
.LBB76_3:                               ; =>This Inner Loop Header: Depth=1
	v_ashrrev_i32_e32 v12, 31, v2
	v_mov_b32_e32 v11, v2
	v_cvt_f32_i32_e32 v13, v2
	v_add_u32_e32 v8, -2, v8
	v_lshlrev_b64 v[11:12], 1, v[11:12]
	v_ashrrev_i32_e32 v10, 31, v3
	v_mov_b32_e32 v9, v3
	v_cvt_f32_i32_e32 v14, v3
	v_cmp_eq_u32_e32 vcc, 0, v8
	v_lshlrev_b64 v[9:10], 1, v[9:10]
	s_or_b64 s[6:7], vcc, s[6:7]
	v_add_co_u32_e32 v11, vcc, s4, v11
	v_addc_co_u32_e32 v12, vcc, v7, v12, vcc
	v_add_u32_e32 v3, s12, v3
	v_add_u32_e32 v2, s11, v2
	v_add_co_u32_e32 v9, vcc, s4, v9
	v_fma_mixlo_f16 v13, s10, v13, v6
	v_addc_co_u32_e32 v10, vcc, v7, v10, vcc
	v_fma_mixlo_f16 v14, s3, v14, v5
	global_store_short v[11:12], v13, off
	global_store_short v[9:10], v14, off
	s_andn2_b64 exec, exec, s[6:7]
	s_cbranch_execnz .LBB76_3
; %bb.4:
	s_or_b64 exec, exec, s[6:7]
	v_mad_u64_u32 v[1:2], s[6:7], v4, s2, v[1:2]
	v_cmp_ne_u32_e32 vcc, v0, v4
	s_orn2_b64 s[6:7], vcc, exec
.LBB76_5:
	s_or_b64 exec, exec, s[0:1]
	s_and_b64 exec, exec, s[6:7]
	s_cbranch_execz .LBB76_8
; %bb.6:
	v_ashrrev_i32_e32 v2, 31, v1
	v_lshlrev_b64 v[2:3], 1, v[1:2]
	s_ashr_i32 s3, s2, 31
	s_waitcnt lgkmcnt(0)
	v_mov_b32_e32 v0, s5
	v_add_co_u32_e32 v2, vcc, s4, v2
	s_lshl_b64 s[0:1], s[2:3], 1
	v_addc_co_u32_e32 v3, vcc, v0, v3, vcc
	s_mov_b64 s[4:5], 0
	v_mov_b32_e32 v0, s9
	v_mov_b32_e32 v4, s1
.LBB76_7:                               ; =>This Inner Loop Header: Depth=1
	v_cvt_f32_i32_e32 v5, v1
	v_add_u32_e32 v1, s2, v1
	v_cmp_le_i32_e32 vcc, s8, v1
	s_or_b64 s[4:5], vcc, s[4:5]
	v_fma_mixlo_f16 v5, s10, v5, v0
	global_store_short v[2:3], v5, off
	v_add_co_u32_e32 v2, vcc, s0, v2
	v_addc_co_u32_e32 v3, vcc, v3, v4, vcc
	s_andn2_b64 exec, exec, s[4:5]
	s_cbranch_execnz .LBB76_7
.LBB76_8:
	s_endpgm
	.section	.rodata,"a",@progbits
	.p2align	6, 0x0
	.amdhsa_kernel _ZN12_GLOBAL__N_141elementwise_kernel_with_index_grid_strideIiZZZN2at6native15arange_cuda_outERKN3c106ScalarES6_S6_RNS1_6TensorEENKUlvE_clEvENKUlvE6_clEvEUllE_EEvT_T0_PN15function_traitsISD_E11result_typeE
		.amdhsa_group_segment_fixed_size 0
		.amdhsa_private_segment_fixed_size 0
		.amdhsa_kernarg_size 280
		.amdhsa_user_sgpr_count 6
		.amdhsa_user_sgpr_private_segment_buffer 1
		.amdhsa_user_sgpr_dispatch_ptr 0
		.amdhsa_user_sgpr_queue_ptr 0
		.amdhsa_user_sgpr_kernarg_segment_ptr 1
		.amdhsa_user_sgpr_dispatch_id 0
		.amdhsa_user_sgpr_flat_scratch_init 0
		.amdhsa_user_sgpr_private_segment_size 0
		.amdhsa_uses_dynamic_stack 0
		.amdhsa_system_sgpr_private_segment_wavefront_offset 0
		.amdhsa_system_sgpr_workgroup_id_x 1
		.amdhsa_system_sgpr_workgroup_id_y 0
		.amdhsa_system_sgpr_workgroup_id_z 0
		.amdhsa_system_sgpr_workgroup_info 0
		.amdhsa_system_vgpr_workitem_id 0
		.amdhsa_next_free_vgpr 15
		.amdhsa_next_free_sgpr 14
		.amdhsa_reserve_vcc 1
		.amdhsa_reserve_flat_scratch 0
		.amdhsa_float_round_mode_32 0
		.amdhsa_float_round_mode_16_64 0
		.amdhsa_float_denorm_mode_32 3
		.amdhsa_float_denorm_mode_16_64 3
		.amdhsa_dx10_clamp 1
		.amdhsa_ieee_mode 1
		.amdhsa_fp16_overflow 0
		.amdhsa_exception_fp_ieee_invalid_op 0
		.amdhsa_exception_fp_denorm_src 0
		.amdhsa_exception_fp_ieee_div_zero 0
		.amdhsa_exception_fp_ieee_overflow 0
		.amdhsa_exception_fp_ieee_underflow 0
		.amdhsa_exception_fp_ieee_inexact 0
		.amdhsa_exception_int_div_zero 0
	.end_amdhsa_kernel
	.section	.text._ZN12_GLOBAL__N_141elementwise_kernel_with_index_grid_strideIiZZZN2at6native15arange_cuda_outERKN3c106ScalarES6_S6_RNS1_6TensorEENKUlvE_clEvENKUlvE6_clEvEUllE_EEvT_T0_PN15function_traitsISD_E11result_typeE,"axG",@progbits,_ZN12_GLOBAL__N_141elementwise_kernel_with_index_grid_strideIiZZZN2at6native15arange_cuda_outERKN3c106ScalarES6_S6_RNS1_6TensorEENKUlvE_clEvENKUlvE6_clEvEUllE_EEvT_T0_PN15function_traitsISD_E11result_typeE,comdat
.Lfunc_end76:
	.size	_ZN12_GLOBAL__N_141elementwise_kernel_with_index_grid_strideIiZZZN2at6native15arange_cuda_outERKN3c106ScalarES6_S6_RNS1_6TensorEENKUlvE_clEvENKUlvE6_clEvEUllE_EEvT_T0_PN15function_traitsISD_E11result_typeE, .Lfunc_end76-_ZN12_GLOBAL__N_141elementwise_kernel_with_index_grid_strideIiZZZN2at6native15arange_cuda_outERKN3c106ScalarES6_S6_RNS1_6TensorEENKUlvE_clEvENKUlvE6_clEvEUllE_EEvT_T0_PN15function_traitsISD_E11result_typeE
                                        ; -- End function
	.set _ZN12_GLOBAL__N_141elementwise_kernel_with_index_grid_strideIiZZZN2at6native15arange_cuda_outERKN3c106ScalarES6_S6_RNS1_6TensorEENKUlvE_clEvENKUlvE6_clEvEUllE_EEvT_T0_PN15function_traitsISD_E11result_typeE.num_vgpr, 15
	.set _ZN12_GLOBAL__N_141elementwise_kernel_with_index_grid_strideIiZZZN2at6native15arange_cuda_outERKN3c106ScalarES6_S6_RNS1_6TensorEENKUlvE_clEvENKUlvE6_clEvEUllE_EEvT_T0_PN15function_traitsISD_E11result_typeE.num_agpr, 0
	.set _ZN12_GLOBAL__N_141elementwise_kernel_with_index_grid_strideIiZZZN2at6native15arange_cuda_outERKN3c106ScalarES6_S6_RNS1_6TensorEENKUlvE_clEvENKUlvE6_clEvEUllE_EEvT_T0_PN15function_traitsISD_E11result_typeE.numbered_sgpr, 14
	.set _ZN12_GLOBAL__N_141elementwise_kernel_with_index_grid_strideIiZZZN2at6native15arange_cuda_outERKN3c106ScalarES6_S6_RNS1_6TensorEENKUlvE_clEvENKUlvE6_clEvEUllE_EEvT_T0_PN15function_traitsISD_E11result_typeE.num_named_barrier, 0
	.set _ZN12_GLOBAL__N_141elementwise_kernel_with_index_grid_strideIiZZZN2at6native15arange_cuda_outERKN3c106ScalarES6_S6_RNS1_6TensorEENKUlvE_clEvENKUlvE6_clEvEUllE_EEvT_T0_PN15function_traitsISD_E11result_typeE.private_seg_size, 0
	.set _ZN12_GLOBAL__N_141elementwise_kernel_with_index_grid_strideIiZZZN2at6native15arange_cuda_outERKN3c106ScalarES6_S6_RNS1_6TensorEENKUlvE_clEvENKUlvE6_clEvEUllE_EEvT_T0_PN15function_traitsISD_E11result_typeE.uses_vcc, 1
	.set _ZN12_GLOBAL__N_141elementwise_kernel_with_index_grid_strideIiZZZN2at6native15arange_cuda_outERKN3c106ScalarES6_S6_RNS1_6TensorEENKUlvE_clEvENKUlvE6_clEvEUllE_EEvT_T0_PN15function_traitsISD_E11result_typeE.uses_flat_scratch, 0
	.set _ZN12_GLOBAL__N_141elementwise_kernel_with_index_grid_strideIiZZZN2at6native15arange_cuda_outERKN3c106ScalarES6_S6_RNS1_6TensorEENKUlvE_clEvENKUlvE6_clEvEUllE_EEvT_T0_PN15function_traitsISD_E11result_typeE.has_dyn_sized_stack, 0
	.set _ZN12_GLOBAL__N_141elementwise_kernel_with_index_grid_strideIiZZZN2at6native15arange_cuda_outERKN3c106ScalarES6_S6_RNS1_6TensorEENKUlvE_clEvENKUlvE6_clEvEUllE_EEvT_T0_PN15function_traitsISD_E11result_typeE.has_recursion, 0
	.set _ZN12_GLOBAL__N_141elementwise_kernel_with_index_grid_strideIiZZZN2at6native15arange_cuda_outERKN3c106ScalarES6_S6_RNS1_6TensorEENKUlvE_clEvENKUlvE6_clEvEUllE_EEvT_T0_PN15function_traitsISD_E11result_typeE.has_indirect_call, 0
	.section	.AMDGPU.csdata,"",@progbits
; Kernel info:
; codeLenInByte = 552
; TotalNumSgprs: 18
; NumVgprs: 15
; ScratchSize: 0
; MemoryBound: 0
; FloatMode: 240
; IeeeMode: 1
; LDSByteSize: 0 bytes/workgroup (compile time only)
; SGPRBlocks: 2
; VGPRBlocks: 3
; NumSGPRsForWavesPerEU: 18
; NumVGPRsForWavesPerEU: 15
; Occupancy: 10
; WaveLimiterHint : 0
; COMPUTE_PGM_RSRC2:SCRATCH_EN: 0
; COMPUTE_PGM_RSRC2:USER_SGPR: 6
; COMPUTE_PGM_RSRC2:TRAP_HANDLER: 0
; COMPUTE_PGM_RSRC2:TGID_X_EN: 1
; COMPUTE_PGM_RSRC2:TGID_Y_EN: 0
; COMPUTE_PGM_RSRC2:TGID_Z_EN: 0
; COMPUTE_PGM_RSRC2:TIDIG_COMP_CNT: 0
	.section	.text._ZN12_GLOBAL__N_141elementwise_kernel_with_index_grid_strideIlZZZN2at6native15arange_cuda_outERKN3c106ScalarES6_S6_RNS1_6TensorEENKUlvE_clEvENKUlvE6_clEvEUllE_EEvT_T0_PN15function_traitsISD_E11result_typeE,"axG",@progbits,_ZN12_GLOBAL__N_141elementwise_kernel_with_index_grid_strideIlZZZN2at6native15arange_cuda_outERKN3c106ScalarES6_S6_RNS1_6TensorEENKUlvE_clEvENKUlvE6_clEvEUllE_EEvT_T0_PN15function_traitsISD_E11result_typeE,comdat
	.globl	_ZN12_GLOBAL__N_141elementwise_kernel_with_index_grid_strideIlZZZN2at6native15arange_cuda_outERKN3c106ScalarES6_S6_RNS1_6TensorEENKUlvE_clEvENKUlvE6_clEvEUllE_EEvT_T0_PN15function_traitsISD_E11result_typeE ; -- Begin function _ZN12_GLOBAL__N_141elementwise_kernel_with_index_grid_strideIlZZZN2at6native15arange_cuda_outERKN3c106ScalarES6_S6_RNS1_6TensorEENKUlvE_clEvENKUlvE6_clEvEUllE_EEvT_T0_PN15function_traitsISD_E11result_typeE
	.p2align	8
	.type	_ZN12_GLOBAL__N_141elementwise_kernel_with_index_grid_strideIlZZZN2at6native15arange_cuda_outERKN3c106ScalarES6_S6_RNS1_6TensorEENKUlvE_clEvENKUlvE6_clEvEUllE_EEvT_T0_PN15function_traitsISD_E11result_typeE,@function
_ZN12_GLOBAL__N_141elementwise_kernel_with_index_grid_strideIlZZZN2at6native15arange_cuda_outERKN3c106ScalarES6_S6_RNS1_6TensorEENKUlvE_clEvENKUlvE6_clEvEUllE_EEvT_T0_PN15function_traitsISD_E11result_typeE: ; @_ZN12_GLOBAL__N_141elementwise_kernel_with_index_grid_strideIlZZZN2at6native15arange_cuda_outERKN3c106ScalarES6_S6_RNS1_6TensorEENKUlvE_clEvENKUlvE6_clEvEUllE_EEvT_T0_PN15function_traitsISD_E11result_typeE
; %bb.0:
	s_load_dword s2, s[4:5], 0x24
	s_load_dwordx2 s[8:9], s[4:5], 0x0
	s_add_u32 s0, s4, 24
	s_addc_u32 s1, s5, 0
	v_mov_b32_e32 v1, 0
	s_waitcnt lgkmcnt(0)
	s_and_b32 s2, s2, 0xffff
	v_mov_b32_e32 v2, s6
	v_mad_u64_u32 v[2:3], s[10:11], s2, v2, v[0:1]
	v_cmp_gt_i64_e32 vcc, s[8:9], v[2:3]
	s_and_saveexec_b64 s[10:11], vcc
	s_cbranch_execz .LBB77_14
; %bb.1:
	s_load_dword s3, s[0:1], 0x0
	s_load_dwordx2 s[10:11], s[4:5], 0x8
	v_mov_b32_e32 v4, s2
	v_mov_b32_e32 v7, s9
	s_waitcnt lgkmcnt(0)
	s_add_u32 s0, s6, s3
	v_mad_u64_u32 v[5:6], s[0:1], s0, v4, v[0:1]
	s_addc_u32 s0, 0, 0
	s_mul_i32 s0, s0, s2
	v_add_u32_e32 v6, s0, v6
	v_cmp_gt_i64_e32 vcc, s[8:9], v[5:6]
	v_mov_b32_e32 v4, s8
	v_cndmask_b32_e32 v0, v6, v7, vcc
	v_cndmask_b32_e32 v7, v5, v4, vcc
	v_cndmask_b32_e64 v4, 0, 1, vcc
	v_add_co_u32_e32 v5, vcc, v5, v4
	v_addc_co_u32_e32 v6, vcc, 0, v6, vcc
	v_sub_co_u32_e32 v5, vcc, v7, v5
	s_mul_hi_u32 s7, s2, s3
	v_subb_co_u32_e32 v6, vcc, v0, v6, vcc
	v_or_b32_e32 v8, s7, v6
	v_mov_b32_e32 v7, v1
	v_cmp_ne_u64_e32 vcc, 0, v[7:8]
	s_mul_i32 s6, s2, s3
                                        ; implicit-def: $vgpr0_vgpr1
	s_and_saveexec_b64 s[0:1], vcc
	s_xor_b64 s[2:3], exec, s[0:1]
	s_cbranch_execz .LBB77_3
; %bb.2:
	v_cvt_f32_u32_e32 v0, s6
	v_cvt_f32_u32_e32 v1, s7
	s_sub_u32 s12, 0, s6
	s_subb_u32 s13, 0, s7
	v_madmk_f32 v0, v1, 0x4f800000, v0
	v_rcp_f32_e32 v0, v0
	v_mul_f32_e32 v0, 0x5f7ffffc, v0
	v_mul_f32_e32 v1, 0x2f800000, v0
	v_trunc_f32_e32 v1, v1
	v_madmk_f32 v0, v1, 0xcf800000, v0
	v_cvt_u32_f32_e32 v1, v1
	v_cvt_u32_f32_e32 v0, v0
	v_readfirstlane_b32 s14, v1
	v_readfirstlane_b32 s0, v0
	s_mul_i32 s1, s12, s14
	s_mul_hi_u32 s16, s12, s0
	s_mul_i32 s15, s13, s0
	s_add_i32 s1, s16, s1
	s_mul_i32 s17, s12, s0
	s_add_i32 s1, s1, s15
	s_mul_i32 s16, s0, s1
	s_mul_hi_u32 s18, s0, s17
	s_mul_hi_u32 s15, s0, s1
	s_add_u32 s16, s18, s16
	s_addc_u32 s15, 0, s15
	s_mul_hi_u32 s19, s14, s17
	s_mul_i32 s17, s14, s17
	s_add_u32 s16, s16, s17
	s_mul_hi_u32 s18, s14, s1
	s_addc_u32 s15, s15, s19
	s_addc_u32 s16, s18, 0
	s_mul_i32 s1, s14, s1
	s_add_u32 s1, s15, s1
	s_addc_u32 s15, 0, s16
	s_add_u32 s16, s0, s1
	s_cselect_b64 s[0:1], -1, 0
	s_cmp_lg_u64 s[0:1], 0
	s_addc_u32 s14, s14, s15
	s_mul_i32 s0, s12, s14
	s_mul_hi_u32 s1, s12, s16
	s_add_i32 s0, s1, s0
	s_mul_i32 s13, s13, s16
	s_add_i32 s0, s0, s13
	s_mul_i32 s12, s12, s16
	s_mul_hi_u32 s13, s14, s12
	s_mul_i32 s15, s14, s12
	s_mul_i32 s18, s16, s0
	s_mul_hi_u32 s12, s16, s12
	s_mul_hi_u32 s17, s16, s0
	s_add_u32 s12, s12, s18
	s_addc_u32 s17, 0, s17
	s_add_u32 s12, s12, s15
	s_mul_hi_u32 s1, s14, s0
	s_addc_u32 s12, s17, s13
	s_addc_u32 s1, s1, 0
	s_mul_i32 s0, s14, s0
	s_add_u32 s0, s12, s0
	s_addc_u32 s12, 0, s1
	s_add_u32 s13, s16, s0
	s_cselect_b64 s[0:1], -1, 0
	s_cmp_lg_u64 s[0:1], 0
	s_addc_u32 s12, s14, s12
	v_mad_u64_u32 v[0:1], s[0:1], v5, s12, 0
	v_mul_hi_u32 v7, v5, s13
	v_add_co_u32_e32 v9, vcc, v7, v0
	v_addc_co_u32_e32 v10, vcc, 0, v1, vcc
	v_mad_u64_u32 v[0:1], s[0:1], v6, s13, 0
	v_mad_u64_u32 v[7:8], s[0:1], v6, s12, 0
	v_add_co_u32_e32 v0, vcc, v9, v0
	v_addc_co_u32_e32 v0, vcc, v10, v1, vcc
	v_addc_co_u32_e32 v1, vcc, 0, v8, vcc
	v_add_co_u32_e32 v7, vcc, v0, v7
	v_addc_co_u32_e32 v8, vcc, 0, v1, vcc
	v_mul_lo_u32 v9, s7, v7
	v_mul_lo_u32 v10, s6, v8
	v_mad_u64_u32 v[0:1], s[0:1], s6, v7, 0
	v_add3_u32 v1, v1, v10, v9
	v_sub_u32_e32 v9, v6, v1
	v_mov_b32_e32 v10, s7
	v_sub_co_u32_e32 v0, vcc, v5, v0
	v_subb_co_u32_e64 v5, s[0:1], v9, v10, vcc
	v_subrev_co_u32_e64 v9, s[0:1], s6, v0
	v_subbrev_co_u32_e64 v5, s[0:1], 0, v5, s[0:1]
	v_cmp_le_u32_e64 s[0:1], s7, v5
	v_cndmask_b32_e64 v10, 0, -1, s[0:1]
	v_cmp_le_u32_e64 s[0:1], s6, v9
	v_cndmask_b32_e64 v9, 0, -1, s[0:1]
	v_cmp_eq_u32_e64 s[0:1], s7, v5
	v_cndmask_b32_e64 v5, v10, v9, s[0:1]
	v_add_co_u32_e64 v9, s[0:1], 2, v7
	v_subb_co_u32_e32 v1, vcc, v6, v1, vcc
	v_addc_co_u32_e64 v10, s[0:1], 0, v8, s[0:1]
	v_cmp_le_u32_e32 vcc, s7, v1
	v_add_co_u32_e64 v11, s[0:1], 1, v7
	v_cndmask_b32_e64 v6, 0, -1, vcc
	v_cmp_le_u32_e32 vcc, s6, v0
	v_addc_co_u32_e64 v12, s[0:1], 0, v8, s[0:1]
	v_cndmask_b32_e64 v0, 0, -1, vcc
	v_cmp_eq_u32_e32 vcc, s7, v1
	v_cmp_ne_u32_e64 s[0:1], 0, v5
	v_cndmask_b32_e32 v0, v6, v0, vcc
	v_cndmask_b32_e64 v5, v12, v10, s[0:1]
	v_cmp_ne_u32_e32 vcc, 0, v0
	v_cndmask_b32_e64 v0, v11, v9, s[0:1]
	v_cndmask_b32_e32 v1, v8, v5, vcc
	v_cndmask_b32_e32 v0, v7, v0, vcc
                                        ; implicit-def: $vgpr5
.LBB77_3:
	s_andn2_saveexec_b64 s[0:1], s[2:3]
	s_cbranch_execz .LBB77_5
; %bb.4:
	v_cvt_f32_u32_e32 v0, s6
	s_sub_i32 s2, 0, s6
	v_rcp_iflag_f32_e32 v0, v0
	v_mul_f32_e32 v0, 0x4f7ffffe, v0
	v_cvt_u32_f32_e32 v0, v0
	v_mul_lo_u32 v1, s2, v0
	v_mul_hi_u32 v1, v0, v1
	v_add_u32_e32 v0, v0, v1
	v_mul_hi_u32 v0, v5, v0
	v_mul_lo_u32 v1, v0, s6
	v_add_u32_e32 v6, 1, v0
	v_sub_u32_e32 v1, v5, v1
	v_subrev_u32_e32 v5, s6, v1
	v_cmp_le_u32_e32 vcc, s6, v1
	v_cndmask_b32_e32 v1, v1, v5, vcc
	v_cndmask_b32_e32 v0, v0, v6, vcc
	v_add_u32_e32 v5, 1, v0
	v_cmp_le_u32_e32 vcc, s6, v1
	v_cndmask_b32_e32 v0, v0, v5, vcc
	v_mov_b32_e32 v1, 0
.LBB77_5:
	s_or_b64 exec, exec, s[0:1]
	v_add_co_u32_e32 v0, vcc, v0, v4
	s_load_dwordx2 s[4:5], s[4:5], 0x10
	v_addc_co_u32_e32 v1, vcc, 0, v1, vcc
	v_add_co_u32_e32 v0, vcc, 1, v0
	v_addc_co_u32_e32 v1, vcc, 0, v1, vcc
	v_cmp_lt_u64_e32 vcc, 1, v[0:1]
	s_mov_b64 s[0:1], 0
                                        ; implicit-def: $vgpr4_vgpr5
	s_and_saveexec_b64 s[2:3], vcc
	s_xor_b64 s[12:13], exec, s[2:3]
	s_cbranch_execnz .LBB77_8
; %bb.6:
	s_andn2_saveexec_b64 s[2:3], s[12:13]
	s_cbranch_execnz .LBB77_11
.LBB77_7:
	s_or_b64 exec, exec, s[2:3]
	s_and_b64 exec, exec, s[0:1]
	s_cbranch_execnz .LBB77_12
	s_branch .LBB77_14
.LBB77_8:
	v_mov_b32_e32 v5, s7
	v_add_co_u32_e32 v4, vcc, s6, v2
	v_lshlrev_b64 v[6:7], 1, v[2:3]
	v_addc_co_u32_e32 v5, vcc, v3, v5, vcc
	v_mov_b32_e32 v9, v1
	s_waitcnt lgkmcnt(0)
	v_mov_b32_e32 v11, s5
	v_add_co_u32_e32 v10, vcc, s4, v6
	v_and_b32_e32 v8, -2, v0
	s_lshl_b64 s[14:15], s[6:7], 1
	v_addc_co_u32_e32 v11, vcc, v11, v7, vcc
	s_lshl_b64 s[18:19], s[6:7], 2
	v_mov_b32_e32 v13, v9
	v_mov_b32_e32 v7, v5
	s_mov_b32 s20, s11
	s_mov_b32 s21, s11
	;; [unrolled: 1-line block ×3, first 2 shown]
	s_mov_b64 s[16:17], 0
	v_mov_b32_e32 v14, s10
	v_mov_b32_e32 v15, s10
	v_mov_b32_e32 v16, s15
	v_mov_b32_e32 v17, s15
	v_mov_b32_e32 v18, s15
	v_mov_b32_e32 v19, s19
	v_mov_b32_e32 v12, v8
	v_mov_b32_e32 v6, v4
	v_mov_b32_e32 v5, v3
	v_mov_b32_e32 v4, v2
.LBB77_9:                               ; =>This Inner Loop Header: Depth=1
	v_ffbh_u32_e32 v20, v5
	v_min_u32_e32 v22, 32, v20
	v_lshlrev_b64 v[20:21], v22, v[4:5]
	v_add_co_u32_e64 v4, s[2:3], s14, v4
	v_min_u32_e32 v20, 1, v20
	v_or_b32_e32 v23, v21, v20
	v_ffbh_u32_e32 v20, v7
	v_min_u32_e32 v24, 32, v20
	v_lshlrev_b64 v[20:21], v24, v[6:7]
	v_add_co_u32_e64 v6, s[0:1], s22, v6
	v_min_u32_e32 v20, 1, v20
	v_or_b32_e32 v20, v21, v20
	v_sub_u32_e32 v21, 32, v22
	v_cvt_f32_u32_e32 v22, v23
	v_cvt_f32_u32_e32 v20, v20
	v_addc_co_u32_e64 v7, s[0:1], v7, v17, s[0:1]
	v_ldexp_f32 v21, v22, v21
	v_sub_u32_e32 v22, 32, v24
	v_ldexp_f32 v22, v20, v22
	v_fma_mixlo_f16 v20, s20, v21, v15
	global_store_short v[10:11], v20, off
	v_add_co_u32_e32 v20, vcc, s14, v10
	v_addc_co_u32_e32 v21, vcc, v11, v16, vcc
	v_add_co_u32_e32 v12, vcc, -2, v12
	v_addc_co_u32_e32 v13, vcc, -1, v13, vcc
	v_cmp_eq_u64_e32 vcc, 0, v[12:13]
	v_fma_mixlo_f16 v22, s21, v22, v14
	s_or_b64 s[16:17], vcc, s[16:17]
	v_add_co_u32_e32 v10, vcc, s18, v10
	v_addc_co_u32_e64 v5, s[0:1], v5, v18, s[2:3]
	v_addc_co_u32_e32 v11, vcc, v11, v19, vcc
	global_store_short v[20:21], v22, off
	s_andn2_b64 exec, exec, s[16:17]
	s_cbranch_execnz .LBB77_9
; %bb.10:
	s_or_b64 exec, exec, s[16:17]
	v_mad_u64_u32 v[2:3], s[0:1], v8, s6, v[2:3]
	v_mul_lo_u32 v4, v8, s7
	v_mul_lo_u32 v5, v9, s6
	v_cmp_ne_u64_e32 vcc, v[0:1], v[8:9]
	s_and_b64 s[0:1], vcc, exec
	v_add3_u32 v3, v5, v3, v4
	v_mov_b32_e32 v4, s14
	v_mov_b32_e32 v5, s15
	s_andn2_saveexec_b64 s[2:3], s[12:13]
	s_cbranch_execz .LBB77_7
.LBB77_11:
	s_lshl_b64 s[12:13], s[6:7], 1
	v_mov_b32_e32 v4, s12
	v_mov_b32_e32 v5, s13
	s_or_b64 s[0:1], s[0:1], exec
	s_or_b64 exec, exec, s[2:3]
	s_and_b64 exec, exec, s[0:1]
	s_cbranch_execz .LBB77_14
.LBB77_12:
	v_lshlrev_b64 v[0:1], 1, v[2:3]
	s_waitcnt lgkmcnt(0)
	v_mov_b32_e32 v6, s5
	v_add_co_u32_e32 v0, vcc, s4, v0
	v_addc_co_u32_e32 v1, vcc, v6, v1, vcc
	s_mov_b64 s[0:1], 0
	v_mov_b32_e32 v6, s10
	v_mov_b32_e32 v7, s7
.LBB77_13:                              ; =>This Inner Loop Header: Depth=1
	v_ffbh_u32_e32 v8, v3
	v_min_u32_e32 v10, 32, v8
	v_lshlrev_b64 v[8:9], v10, v[2:3]
	v_add_co_u32_e32 v2, vcc, s6, v2
	v_min_u32_e32 v8, 1, v8
	v_or_b32_e32 v8, v9, v8
	v_cvt_f32_u32_e32 v8, v8
	v_sub_u32_e32 v10, 32, v10
	v_addc_co_u32_e32 v3, vcc, v3, v7, vcc
	v_cmp_le_i64_e32 vcc, s[8:9], v[2:3]
	v_ldexp_f32 v8, v8, v10
	v_fma_mixlo_f16 v8, s11, v8, v6
	s_or_b64 s[0:1], vcc, s[0:1]
	global_store_short v[0:1], v8, off
	v_add_co_u32_e32 v0, vcc, v0, v4
	v_addc_co_u32_e32 v1, vcc, v1, v5, vcc
	s_andn2_b64 exec, exec, s[0:1]
	s_cbranch_execnz .LBB77_13
.LBB77_14:
	s_endpgm
	.section	.rodata,"a",@progbits
	.p2align	6, 0x0
	.amdhsa_kernel _ZN12_GLOBAL__N_141elementwise_kernel_with_index_grid_strideIlZZZN2at6native15arange_cuda_outERKN3c106ScalarES6_S6_RNS1_6TensorEENKUlvE_clEvENKUlvE6_clEvEUllE_EEvT_T0_PN15function_traitsISD_E11result_typeE
		.amdhsa_group_segment_fixed_size 0
		.amdhsa_private_segment_fixed_size 0
		.amdhsa_kernarg_size 280
		.amdhsa_user_sgpr_count 6
		.amdhsa_user_sgpr_private_segment_buffer 1
		.amdhsa_user_sgpr_dispatch_ptr 0
		.amdhsa_user_sgpr_queue_ptr 0
		.amdhsa_user_sgpr_kernarg_segment_ptr 1
		.amdhsa_user_sgpr_dispatch_id 0
		.amdhsa_user_sgpr_flat_scratch_init 0
		.amdhsa_user_sgpr_private_segment_size 0
		.amdhsa_uses_dynamic_stack 0
		.amdhsa_system_sgpr_private_segment_wavefront_offset 0
		.amdhsa_system_sgpr_workgroup_id_x 1
		.amdhsa_system_sgpr_workgroup_id_y 0
		.amdhsa_system_sgpr_workgroup_id_z 0
		.amdhsa_system_sgpr_workgroup_info 0
		.amdhsa_system_vgpr_workitem_id 0
		.amdhsa_next_free_vgpr 25
		.amdhsa_next_free_sgpr 23
		.amdhsa_reserve_vcc 1
		.amdhsa_reserve_flat_scratch 0
		.amdhsa_float_round_mode_32 0
		.amdhsa_float_round_mode_16_64 0
		.amdhsa_float_denorm_mode_32 3
		.amdhsa_float_denorm_mode_16_64 3
		.amdhsa_dx10_clamp 1
		.amdhsa_ieee_mode 1
		.amdhsa_fp16_overflow 0
		.amdhsa_exception_fp_ieee_invalid_op 0
		.amdhsa_exception_fp_denorm_src 0
		.amdhsa_exception_fp_ieee_div_zero 0
		.amdhsa_exception_fp_ieee_overflow 0
		.amdhsa_exception_fp_ieee_underflow 0
		.amdhsa_exception_fp_ieee_inexact 0
		.amdhsa_exception_int_div_zero 0
	.end_amdhsa_kernel
	.section	.text._ZN12_GLOBAL__N_141elementwise_kernel_with_index_grid_strideIlZZZN2at6native15arange_cuda_outERKN3c106ScalarES6_S6_RNS1_6TensorEENKUlvE_clEvENKUlvE6_clEvEUllE_EEvT_T0_PN15function_traitsISD_E11result_typeE,"axG",@progbits,_ZN12_GLOBAL__N_141elementwise_kernel_with_index_grid_strideIlZZZN2at6native15arange_cuda_outERKN3c106ScalarES6_S6_RNS1_6TensorEENKUlvE_clEvENKUlvE6_clEvEUllE_EEvT_T0_PN15function_traitsISD_E11result_typeE,comdat
.Lfunc_end77:
	.size	_ZN12_GLOBAL__N_141elementwise_kernel_with_index_grid_strideIlZZZN2at6native15arange_cuda_outERKN3c106ScalarES6_S6_RNS1_6TensorEENKUlvE_clEvENKUlvE6_clEvEUllE_EEvT_T0_PN15function_traitsISD_E11result_typeE, .Lfunc_end77-_ZN12_GLOBAL__N_141elementwise_kernel_with_index_grid_strideIlZZZN2at6native15arange_cuda_outERKN3c106ScalarES6_S6_RNS1_6TensorEENKUlvE_clEvENKUlvE6_clEvEUllE_EEvT_T0_PN15function_traitsISD_E11result_typeE
                                        ; -- End function
	.set _ZN12_GLOBAL__N_141elementwise_kernel_with_index_grid_strideIlZZZN2at6native15arange_cuda_outERKN3c106ScalarES6_S6_RNS1_6TensorEENKUlvE_clEvENKUlvE6_clEvEUllE_EEvT_T0_PN15function_traitsISD_E11result_typeE.num_vgpr, 25
	.set _ZN12_GLOBAL__N_141elementwise_kernel_with_index_grid_strideIlZZZN2at6native15arange_cuda_outERKN3c106ScalarES6_S6_RNS1_6TensorEENKUlvE_clEvENKUlvE6_clEvEUllE_EEvT_T0_PN15function_traitsISD_E11result_typeE.num_agpr, 0
	.set _ZN12_GLOBAL__N_141elementwise_kernel_with_index_grid_strideIlZZZN2at6native15arange_cuda_outERKN3c106ScalarES6_S6_RNS1_6TensorEENKUlvE_clEvENKUlvE6_clEvEUllE_EEvT_T0_PN15function_traitsISD_E11result_typeE.numbered_sgpr, 23
	.set _ZN12_GLOBAL__N_141elementwise_kernel_with_index_grid_strideIlZZZN2at6native15arange_cuda_outERKN3c106ScalarES6_S6_RNS1_6TensorEENKUlvE_clEvENKUlvE6_clEvEUllE_EEvT_T0_PN15function_traitsISD_E11result_typeE.num_named_barrier, 0
	.set _ZN12_GLOBAL__N_141elementwise_kernel_with_index_grid_strideIlZZZN2at6native15arange_cuda_outERKN3c106ScalarES6_S6_RNS1_6TensorEENKUlvE_clEvENKUlvE6_clEvEUllE_EEvT_T0_PN15function_traitsISD_E11result_typeE.private_seg_size, 0
	.set _ZN12_GLOBAL__N_141elementwise_kernel_with_index_grid_strideIlZZZN2at6native15arange_cuda_outERKN3c106ScalarES6_S6_RNS1_6TensorEENKUlvE_clEvENKUlvE6_clEvEUllE_EEvT_T0_PN15function_traitsISD_E11result_typeE.uses_vcc, 1
	.set _ZN12_GLOBAL__N_141elementwise_kernel_with_index_grid_strideIlZZZN2at6native15arange_cuda_outERKN3c106ScalarES6_S6_RNS1_6TensorEENKUlvE_clEvENKUlvE6_clEvEUllE_EEvT_T0_PN15function_traitsISD_E11result_typeE.uses_flat_scratch, 0
	.set _ZN12_GLOBAL__N_141elementwise_kernel_with_index_grid_strideIlZZZN2at6native15arange_cuda_outERKN3c106ScalarES6_S6_RNS1_6TensorEENKUlvE_clEvENKUlvE6_clEvEUllE_EEvT_T0_PN15function_traitsISD_E11result_typeE.has_dyn_sized_stack, 0
	.set _ZN12_GLOBAL__N_141elementwise_kernel_with_index_grid_strideIlZZZN2at6native15arange_cuda_outERKN3c106ScalarES6_S6_RNS1_6TensorEENKUlvE_clEvENKUlvE6_clEvEUllE_EEvT_T0_PN15function_traitsISD_E11result_typeE.has_recursion, 0
	.set _ZN12_GLOBAL__N_141elementwise_kernel_with_index_grid_strideIlZZZN2at6native15arange_cuda_outERKN3c106ScalarES6_S6_RNS1_6TensorEENKUlvE_clEvENKUlvE6_clEvEUllE_EEvT_T0_PN15function_traitsISD_E11result_typeE.has_indirect_call, 0
	.section	.AMDGPU.csdata,"",@progbits
; Kernel info:
; codeLenInByte = 1436
; TotalNumSgprs: 27
; NumVgprs: 25
; ScratchSize: 0
; MemoryBound: 0
; FloatMode: 240
; IeeeMode: 1
; LDSByteSize: 0 bytes/workgroup (compile time only)
; SGPRBlocks: 3
; VGPRBlocks: 6
; NumSGPRsForWavesPerEU: 27
; NumVGPRsForWavesPerEU: 25
; Occupancy: 9
; WaveLimiterHint : 0
; COMPUTE_PGM_RSRC2:SCRATCH_EN: 0
; COMPUTE_PGM_RSRC2:USER_SGPR: 6
; COMPUTE_PGM_RSRC2:TRAP_HANDLER: 0
; COMPUTE_PGM_RSRC2:TGID_X_EN: 1
; COMPUTE_PGM_RSRC2:TGID_Y_EN: 0
; COMPUTE_PGM_RSRC2:TGID_Z_EN: 0
; COMPUTE_PGM_RSRC2:TIDIG_COMP_CNT: 0
	.section	.text._ZN12_GLOBAL__N_141elementwise_kernel_with_index_grid_strideIiZZZN2at6native15arange_cuda_outERKN3c106ScalarES6_S6_RNS1_6TensorEENKUlvE_clEvENKUlvE7_clEvEUllE_EEvT_T0_PN15function_traitsISD_E11result_typeE,"axG",@progbits,_ZN12_GLOBAL__N_141elementwise_kernel_with_index_grid_strideIiZZZN2at6native15arange_cuda_outERKN3c106ScalarES6_S6_RNS1_6TensorEENKUlvE_clEvENKUlvE7_clEvEUllE_EEvT_T0_PN15function_traitsISD_E11result_typeE,comdat
	.globl	_ZN12_GLOBAL__N_141elementwise_kernel_with_index_grid_strideIiZZZN2at6native15arange_cuda_outERKN3c106ScalarES6_S6_RNS1_6TensorEENKUlvE_clEvENKUlvE7_clEvEUllE_EEvT_T0_PN15function_traitsISD_E11result_typeE ; -- Begin function _ZN12_GLOBAL__N_141elementwise_kernel_with_index_grid_strideIiZZZN2at6native15arange_cuda_outERKN3c106ScalarES6_S6_RNS1_6TensorEENKUlvE_clEvENKUlvE7_clEvEUllE_EEvT_T0_PN15function_traitsISD_E11result_typeE
	.p2align	8
	.type	_ZN12_GLOBAL__N_141elementwise_kernel_with_index_grid_strideIiZZZN2at6native15arange_cuda_outERKN3c106ScalarES6_S6_RNS1_6TensorEENKUlvE_clEvENKUlvE7_clEvEUllE_EEvT_T0_PN15function_traitsISD_E11result_typeE,@function
_ZN12_GLOBAL__N_141elementwise_kernel_with_index_grid_strideIiZZZN2at6native15arange_cuda_outERKN3c106ScalarES6_S6_RNS1_6TensorEENKUlvE_clEvENKUlvE7_clEvEUllE_EEvT_T0_PN15function_traitsISD_E11result_typeE: ; @_ZN12_GLOBAL__N_141elementwise_kernel_with_index_grid_strideIiZZZN2at6native15arange_cuda_outERKN3c106ScalarES6_S6_RNS1_6TensorEENKUlvE_clEvENKUlvE7_clEvEUllE_EEvT_T0_PN15function_traitsISD_E11result_typeE
; %bb.0:
	s_load_dword s2, s[4:5], 0x24
	s_load_dwordx4 s[8:11], s[4:5], 0x0
	s_add_u32 s0, s4, 24
	s_addc_u32 s1, s5, 0
	s_waitcnt lgkmcnt(0)
	s_and_b32 s3, s2, 0xffff
	s_mul_i32 s2, s6, s3
	v_add_u32_e32 v1, s2, v0
	v_cmp_gt_i32_e32 vcc, s8, v1
	s_and_saveexec_b64 s[12:13], vcc
	s_cbranch_execz .LBB78_8
; %bb.1:
	s_load_dword s0, s[0:1], 0x0
	s_waitcnt lgkmcnt(0)
	s_mul_i32 s2, s0, s3
	v_cvt_f32_u32_e32 v2, s2
	s_sub_i32 s1, 0, s2
	s_add_i32 s0, s6, s0
	s_mul_i32 s0, s0, s3
	v_rcp_iflag_f32_e32 v2, v2
	v_add_u32_e32 v4, s0, v0
	v_mov_b32_e32 v5, s0
	v_cmp_gt_i32_e32 vcc, s8, v4
	v_mul_f32_e32 v2, 0x4f7ffffe, v2
	v_cvt_u32_f32_e32 v2, v2
	v_max_i32_e32 v6, s8, v4
	s_load_dwordx2 s[4:5], s[4:5], 0x10
	v_mul_lo_u32 v3, s1, v2
	v_addc_co_u32_e64 v0, s[0:1], v0, v5, vcc
	v_sub_u32_e32 v0, v6, v0
	v_mul_hi_u32 v3, v2, v3
	v_add_u32_e32 v2, v2, v3
	v_mul_hi_u32 v2, v0, v2
	v_mul_lo_u32 v3, v2, s2
	v_add_u32_e32 v4, 1, v2
	v_sub_u32_e32 v0, v0, v3
	v_cmp_le_u32_e64 s[0:1], s2, v0
	v_subrev_u32_e32 v3, s2, v0
	v_cndmask_b32_e64 v2, v2, v4, s[0:1]
	v_cndmask_b32_e64 v0, v0, v3, s[0:1]
	v_add_u32_e32 v3, 1, v2
	v_cmp_le_u32_e64 s[0:1], s2, v0
	v_cndmask_b32_e64 v0, v2, v3, s[0:1]
	v_addc_co_u32_e32 v0, vcc, 1, v0, vcc
	v_cmp_lt_u32_e32 vcc, 1, v0
	s_mov_b64 s[0:1], -1
	s_and_saveexec_b64 s[6:7], vcc
	s_cbranch_execz .LBB78_5
; %bb.2:
	v_add_u32_e32 v2, s2, v1
	v_and_b32_e32 v4, -2, v0
	s_lshl_b32 s11, s2, 1
	v_mov_b32_e32 v3, v2
	s_mov_b32 s3, s10
	s_mov_b32 s14, s11
	s_mov_b64 s[12:13], 0
	v_mov_b32_e32 v5, s9
	v_mov_b32_e32 v6, s9
	s_movk_i32 s15, 0x7fff
	v_mov_b32_e32 v7, 0x7fc0
	s_waitcnt lgkmcnt(0)
	v_mov_b32_e32 v8, s5
	v_mov_b32_e32 v9, 1
	;; [unrolled: 1-line block ×4, first 2 shown]
.LBB78_3:                               ; =>This Inner Loop Header: Depth=1
	v_ashrrev_i32_e32 v14, 31, v2
	v_mov_b32_e32 v13, v2
	v_cvt_f32_i32_e32 v16, v2
	v_cvt_f32_i32_e32 v15, v3
	v_add_u32_e32 v10, -2, v10
	v_lshlrev_b64 v[13:14], 1, v[13:14]
	v_ashrrev_i32_e32 v12, 31, v3
	v_mov_b32_e32 v11, v3
	v_cmp_eq_u32_e32 vcc, 0, v10
	v_lshlrev_b64 v[11:12], 1, v[11:12]
	s_or_b64 s[12:13], vcc, s[12:13]
	v_add_co_u32_e32 v13, vcc, s4, v13
	v_addc_co_u32_e32 v14, vcc, v8, v14, vcc
	v_fma_f32 v16, s10, v16, v5
	v_add_co_u32_e32 v11, vcc, s4, v11
	v_fma_f32 v15, s3, v15, v6
	v_and_b32_sdwa v18, v16, v9 dst_sel:DWORD dst_unused:UNUSED_PAD src0_sel:WORD_1 src1_sel:DWORD
	v_addc_co_u32_e32 v12, vcc, v8, v12, vcc
	v_and_b32_sdwa v17, v15, v9 dst_sel:DWORD dst_unused:UNUSED_PAD src0_sel:WORD_1 src1_sel:DWORD
	v_add3_u32 v18, v16, v18, s15
	v_add3_u32 v17, v15, v17, s15
	v_lshrrev_b32_e32 v18, 16, v18
	v_cmp_o_f32_e32 vcc, v16, v16
	v_add_u32_e32 v3, s14, v3
	v_add_u32_e32 v2, s11, v2
	v_lshrrev_b32_e32 v17, 16, v17
	v_cmp_o_f32_e64 s[0:1], v15, v15
	v_cndmask_b32_e32 v16, v7, v18, vcc
	v_cndmask_b32_e64 v15, v7, v17, s[0:1]
	global_store_short v[13:14], v16, off
	global_store_short v[11:12], v15, off
	s_andn2_b64 exec, exec, s[12:13]
	s_cbranch_execnz .LBB78_3
; %bb.4:
	s_or_b64 exec, exec, s[12:13]
	v_mad_u64_u32 v[1:2], s[0:1], v4, s2, v[1:2]
	v_cmp_ne_u32_e32 vcc, v0, v4
	s_orn2_b64 s[0:1], vcc, exec
.LBB78_5:
	s_or_b64 exec, exec, s[6:7]
	s_and_b64 exec, exec, s[0:1]
	s_cbranch_execz .LBB78_8
; %bb.6:
	v_ashrrev_i32_e32 v2, 31, v1
	v_lshlrev_b64 v[2:3], 1, v[1:2]
	s_ashr_i32 s3, s2, 31
	s_waitcnt lgkmcnt(0)
	v_mov_b32_e32 v0, s5
	v_add_co_u32_e32 v2, vcc, s4, v2
	s_lshl_b64 s[0:1], s[2:3], 1
	v_addc_co_u32_e32 v3, vcc, v0, v3, vcc
	s_mov_b64 s[4:5], 0
	v_mov_b32_e32 v0, s9
	s_movk_i32 s3, 0x7fff
	v_mov_b32_e32 v4, 0x7fc0
	v_mov_b32_e32 v5, s1
.LBB78_7:                               ; =>This Inner Loop Header: Depth=1
	v_cvt_f32_i32_e32 v6, v1
	v_add_u32_e32 v1, s2, v1
	v_cmp_le_i32_e32 vcc, s8, v1
	s_or_b64 s[4:5], vcc, s[4:5]
	v_fma_f32 v6, s10, v6, v0
	v_bfe_u32 v7, v6, 16, 1
	v_cmp_o_f32_e32 vcc, v6, v6
	v_add3_u32 v6, v6, v7, s3
	v_cndmask_b32_sdwa v6, v4, v6, vcc dst_sel:DWORD dst_unused:UNUSED_PAD src0_sel:DWORD src1_sel:WORD_1
	global_store_short v[2:3], v6, off
	v_add_co_u32_e32 v2, vcc, s0, v2
	v_addc_co_u32_e32 v3, vcc, v3, v5, vcc
	s_andn2_b64 exec, exec, s[4:5]
	s_cbranch_execnz .LBB78_7
.LBB78_8:
	s_endpgm
	.section	.rodata,"a",@progbits
	.p2align	6, 0x0
	.amdhsa_kernel _ZN12_GLOBAL__N_141elementwise_kernel_with_index_grid_strideIiZZZN2at6native15arange_cuda_outERKN3c106ScalarES6_S6_RNS1_6TensorEENKUlvE_clEvENKUlvE7_clEvEUllE_EEvT_T0_PN15function_traitsISD_E11result_typeE
		.amdhsa_group_segment_fixed_size 0
		.amdhsa_private_segment_fixed_size 0
		.amdhsa_kernarg_size 280
		.amdhsa_user_sgpr_count 6
		.amdhsa_user_sgpr_private_segment_buffer 1
		.amdhsa_user_sgpr_dispatch_ptr 0
		.amdhsa_user_sgpr_queue_ptr 0
		.amdhsa_user_sgpr_kernarg_segment_ptr 1
		.amdhsa_user_sgpr_dispatch_id 0
		.amdhsa_user_sgpr_flat_scratch_init 0
		.amdhsa_user_sgpr_private_segment_size 0
		.amdhsa_uses_dynamic_stack 0
		.amdhsa_system_sgpr_private_segment_wavefront_offset 0
		.amdhsa_system_sgpr_workgroup_id_x 1
		.amdhsa_system_sgpr_workgroup_id_y 0
		.amdhsa_system_sgpr_workgroup_id_z 0
		.amdhsa_system_sgpr_workgroup_info 0
		.amdhsa_system_vgpr_workitem_id 0
		.amdhsa_next_free_vgpr 19
		.amdhsa_next_free_sgpr 16
		.amdhsa_reserve_vcc 1
		.amdhsa_reserve_flat_scratch 0
		.amdhsa_float_round_mode_32 0
		.amdhsa_float_round_mode_16_64 0
		.amdhsa_float_denorm_mode_32 3
		.amdhsa_float_denorm_mode_16_64 3
		.amdhsa_dx10_clamp 1
		.amdhsa_ieee_mode 1
		.amdhsa_fp16_overflow 0
		.amdhsa_exception_fp_ieee_invalid_op 0
		.amdhsa_exception_fp_denorm_src 0
		.amdhsa_exception_fp_ieee_div_zero 0
		.amdhsa_exception_fp_ieee_overflow 0
		.amdhsa_exception_fp_ieee_underflow 0
		.amdhsa_exception_fp_ieee_inexact 0
		.amdhsa_exception_int_div_zero 0
	.end_amdhsa_kernel
	.section	.text._ZN12_GLOBAL__N_141elementwise_kernel_with_index_grid_strideIiZZZN2at6native15arange_cuda_outERKN3c106ScalarES6_S6_RNS1_6TensorEENKUlvE_clEvENKUlvE7_clEvEUllE_EEvT_T0_PN15function_traitsISD_E11result_typeE,"axG",@progbits,_ZN12_GLOBAL__N_141elementwise_kernel_with_index_grid_strideIiZZZN2at6native15arange_cuda_outERKN3c106ScalarES6_S6_RNS1_6TensorEENKUlvE_clEvENKUlvE7_clEvEUllE_EEvT_T0_PN15function_traitsISD_E11result_typeE,comdat
.Lfunc_end78:
	.size	_ZN12_GLOBAL__N_141elementwise_kernel_with_index_grid_strideIiZZZN2at6native15arange_cuda_outERKN3c106ScalarES6_S6_RNS1_6TensorEENKUlvE_clEvENKUlvE7_clEvEUllE_EEvT_T0_PN15function_traitsISD_E11result_typeE, .Lfunc_end78-_ZN12_GLOBAL__N_141elementwise_kernel_with_index_grid_strideIiZZZN2at6native15arange_cuda_outERKN3c106ScalarES6_S6_RNS1_6TensorEENKUlvE_clEvENKUlvE7_clEvEUllE_EEvT_T0_PN15function_traitsISD_E11result_typeE
                                        ; -- End function
	.set _ZN12_GLOBAL__N_141elementwise_kernel_with_index_grid_strideIiZZZN2at6native15arange_cuda_outERKN3c106ScalarES6_S6_RNS1_6TensorEENKUlvE_clEvENKUlvE7_clEvEUllE_EEvT_T0_PN15function_traitsISD_E11result_typeE.num_vgpr, 19
	.set _ZN12_GLOBAL__N_141elementwise_kernel_with_index_grid_strideIiZZZN2at6native15arange_cuda_outERKN3c106ScalarES6_S6_RNS1_6TensorEENKUlvE_clEvENKUlvE7_clEvEUllE_EEvT_T0_PN15function_traitsISD_E11result_typeE.num_agpr, 0
	.set _ZN12_GLOBAL__N_141elementwise_kernel_with_index_grid_strideIiZZZN2at6native15arange_cuda_outERKN3c106ScalarES6_S6_RNS1_6TensorEENKUlvE_clEvENKUlvE7_clEvEUllE_EEvT_T0_PN15function_traitsISD_E11result_typeE.numbered_sgpr, 16
	.set _ZN12_GLOBAL__N_141elementwise_kernel_with_index_grid_strideIiZZZN2at6native15arange_cuda_outERKN3c106ScalarES6_S6_RNS1_6TensorEENKUlvE_clEvENKUlvE7_clEvEUllE_EEvT_T0_PN15function_traitsISD_E11result_typeE.num_named_barrier, 0
	.set _ZN12_GLOBAL__N_141elementwise_kernel_with_index_grid_strideIiZZZN2at6native15arange_cuda_outERKN3c106ScalarES6_S6_RNS1_6TensorEENKUlvE_clEvENKUlvE7_clEvEUllE_EEvT_T0_PN15function_traitsISD_E11result_typeE.private_seg_size, 0
	.set _ZN12_GLOBAL__N_141elementwise_kernel_with_index_grid_strideIiZZZN2at6native15arange_cuda_outERKN3c106ScalarES6_S6_RNS1_6TensorEENKUlvE_clEvENKUlvE7_clEvEUllE_EEvT_T0_PN15function_traitsISD_E11result_typeE.uses_vcc, 1
	.set _ZN12_GLOBAL__N_141elementwise_kernel_with_index_grid_strideIiZZZN2at6native15arange_cuda_outERKN3c106ScalarES6_S6_RNS1_6TensorEENKUlvE_clEvENKUlvE7_clEvEUllE_EEvT_T0_PN15function_traitsISD_E11result_typeE.uses_flat_scratch, 0
	.set _ZN12_GLOBAL__N_141elementwise_kernel_with_index_grid_strideIiZZZN2at6native15arange_cuda_outERKN3c106ScalarES6_S6_RNS1_6TensorEENKUlvE_clEvENKUlvE7_clEvEUllE_EEvT_T0_PN15function_traitsISD_E11result_typeE.has_dyn_sized_stack, 0
	.set _ZN12_GLOBAL__N_141elementwise_kernel_with_index_grid_strideIiZZZN2at6native15arange_cuda_outERKN3c106ScalarES6_S6_RNS1_6TensorEENKUlvE_clEvENKUlvE7_clEvEUllE_EEvT_T0_PN15function_traitsISD_E11result_typeE.has_recursion, 0
	.set _ZN12_GLOBAL__N_141elementwise_kernel_with_index_grid_strideIiZZZN2at6native15arange_cuda_outERKN3c106ScalarES6_S6_RNS1_6TensorEENKUlvE_clEvENKUlvE7_clEvEUllE_EEvT_T0_PN15function_traitsISD_E11result_typeE.has_indirect_call, 0
	.section	.AMDGPU.csdata,"",@progbits
; Kernel info:
; codeLenInByte = 672
; TotalNumSgprs: 20
; NumVgprs: 19
; ScratchSize: 0
; MemoryBound: 0
; FloatMode: 240
; IeeeMode: 1
; LDSByteSize: 0 bytes/workgroup (compile time only)
; SGPRBlocks: 2
; VGPRBlocks: 4
; NumSGPRsForWavesPerEU: 20
; NumVGPRsForWavesPerEU: 19
; Occupancy: 10
; WaveLimiterHint : 0
; COMPUTE_PGM_RSRC2:SCRATCH_EN: 0
; COMPUTE_PGM_RSRC2:USER_SGPR: 6
; COMPUTE_PGM_RSRC2:TRAP_HANDLER: 0
; COMPUTE_PGM_RSRC2:TGID_X_EN: 1
; COMPUTE_PGM_RSRC2:TGID_Y_EN: 0
; COMPUTE_PGM_RSRC2:TGID_Z_EN: 0
; COMPUTE_PGM_RSRC2:TIDIG_COMP_CNT: 0
	.section	.text._ZN12_GLOBAL__N_141elementwise_kernel_with_index_grid_strideIlZZZN2at6native15arange_cuda_outERKN3c106ScalarES6_S6_RNS1_6TensorEENKUlvE_clEvENKUlvE7_clEvEUllE_EEvT_T0_PN15function_traitsISD_E11result_typeE,"axG",@progbits,_ZN12_GLOBAL__N_141elementwise_kernel_with_index_grid_strideIlZZZN2at6native15arange_cuda_outERKN3c106ScalarES6_S6_RNS1_6TensorEENKUlvE_clEvENKUlvE7_clEvEUllE_EEvT_T0_PN15function_traitsISD_E11result_typeE,comdat
	.globl	_ZN12_GLOBAL__N_141elementwise_kernel_with_index_grid_strideIlZZZN2at6native15arange_cuda_outERKN3c106ScalarES6_S6_RNS1_6TensorEENKUlvE_clEvENKUlvE7_clEvEUllE_EEvT_T0_PN15function_traitsISD_E11result_typeE ; -- Begin function _ZN12_GLOBAL__N_141elementwise_kernel_with_index_grid_strideIlZZZN2at6native15arange_cuda_outERKN3c106ScalarES6_S6_RNS1_6TensorEENKUlvE_clEvENKUlvE7_clEvEUllE_EEvT_T0_PN15function_traitsISD_E11result_typeE
	.p2align	8
	.type	_ZN12_GLOBAL__N_141elementwise_kernel_with_index_grid_strideIlZZZN2at6native15arange_cuda_outERKN3c106ScalarES6_S6_RNS1_6TensorEENKUlvE_clEvENKUlvE7_clEvEUllE_EEvT_T0_PN15function_traitsISD_E11result_typeE,@function
_ZN12_GLOBAL__N_141elementwise_kernel_with_index_grid_strideIlZZZN2at6native15arange_cuda_outERKN3c106ScalarES6_S6_RNS1_6TensorEENKUlvE_clEvENKUlvE7_clEvEUllE_EEvT_T0_PN15function_traitsISD_E11result_typeE: ; @_ZN12_GLOBAL__N_141elementwise_kernel_with_index_grid_strideIlZZZN2at6native15arange_cuda_outERKN3c106ScalarES6_S6_RNS1_6TensorEENKUlvE_clEvENKUlvE7_clEvEUllE_EEvT_T0_PN15function_traitsISD_E11result_typeE
; %bb.0:
	s_load_dword s2, s[4:5], 0x24
	s_load_dwordx2 s[8:9], s[4:5], 0x0
	s_add_u32 s0, s4, 24
	s_addc_u32 s1, s5, 0
	v_mov_b32_e32 v1, 0
	s_waitcnt lgkmcnt(0)
	s_and_b32 s2, s2, 0xffff
	v_mov_b32_e32 v2, s6
	v_mad_u64_u32 v[2:3], s[10:11], s2, v2, v[0:1]
	v_cmp_gt_i64_e32 vcc, s[8:9], v[2:3]
	s_and_saveexec_b64 s[10:11], vcc
	s_cbranch_execz .LBB79_14
; %bb.1:
	s_load_dword s3, s[0:1], 0x0
	s_load_dwordx2 s[10:11], s[4:5], 0x8
	v_mov_b32_e32 v4, s2
	v_mov_b32_e32 v7, s9
	s_waitcnt lgkmcnt(0)
	s_add_u32 s0, s6, s3
	v_mad_u64_u32 v[5:6], s[0:1], s0, v4, v[0:1]
	s_addc_u32 s0, 0, 0
	s_mul_i32 s0, s0, s2
	v_add_u32_e32 v6, s0, v6
	v_cmp_gt_i64_e32 vcc, s[8:9], v[5:6]
	v_mov_b32_e32 v4, s8
	v_cndmask_b32_e32 v0, v6, v7, vcc
	v_cndmask_b32_e32 v7, v5, v4, vcc
	v_cndmask_b32_e64 v4, 0, 1, vcc
	v_add_co_u32_e32 v5, vcc, v5, v4
	v_addc_co_u32_e32 v6, vcc, 0, v6, vcc
	v_sub_co_u32_e32 v5, vcc, v7, v5
	s_mul_hi_u32 s7, s2, s3
	v_subb_co_u32_e32 v6, vcc, v0, v6, vcc
	v_or_b32_e32 v8, s7, v6
	v_mov_b32_e32 v7, v1
	v_cmp_ne_u64_e32 vcc, 0, v[7:8]
	s_mul_i32 s6, s2, s3
                                        ; implicit-def: $vgpr0_vgpr1
	s_and_saveexec_b64 s[0:1], vcc
	s_xor_b64 s[2:3], exec, s[0:1]
	s_cbranch_execz .LBB79_3
; %bb.2:
	v_cvt_f32_u32_e32 v0, s6
	v_cvt_f32_u32_e32 v1, s7
	s_sub_u32 s12, 0, s6
	s_subb_u32 s13, 0, s7
	v_madmk_f32 v0, v1, 0x4f800000, v0
	v_rcp_f32_e32 v0, v0
	v_mul_f32_e32 v0, 0x5f7ffffc, v0
	v_mul_f32_e32 v1, 0x2f800000, v0
	v_trunc_f32_e32 v1, v1
	v_madmk_f32 v0, v1, 0xcf800000, v0
	v_cvt_u32_f32_e32 v1, v1
	v_cvt_u32_f32_e32 v0, v0
	v_readfirstlane_b32 s14, v1
	v_readfirstlane_b32 s0, v0
	s_mul_i32 s1, s12, s14
	s_mul_hi_u32 s16, s12, s0
	s_mul_i32 s15, s13, s0
	s_add_i32 s1, s16, s1
	s_mul_i32 s17, s12, s0
	s_add_i32 s1, s1, s15
	s_mul_i32 s16, s0, s1
	s_mul_hi_u32 s18, s0, s17
	s_mul_hi_u32 s15, s0, s1
	s_add_u32 s16, s18, s16
	s_addc_u32 s15, 0, s15
	s_mul_hi_u32 s19, s14, s17
	s_mul_i32 s17, s14, s17
	s_add_u32 s16, s16, s17
	s_mul_hi_u32 s18, s14, s1
	s_addc_u32 s15, s15, s19
	s_addc_u32 s16, s18, 0
	s_mul_i32 s1, s14, s1
	s_add_u32 s1, s15, s1
	s_addc_u32 s15, 0, s16
	s_add_u32 s16, s0, s1
	s_cselect_b64 s[0:1], -1, 0
	s_cmp_lg_u64 s[0:1], 0
	s_addc_u32 s14, s14, s15
	s_mul_i32 s0, s12, s14
	s_mul_hi_u32 s1, s12, s16
	s_add_i32 s0, s1, s0
	s_mul_i32 s13, s13, s16
	s_add_i32 s0, s0, s13
	s_mul_i32 s12, s12, s16
	s_mul_hi_u32 s13, s14, s12
	s_mul_i32 s15, s14, s12
	s_mul_i32 s18, s16, s0
	s_mul_hi_u32 s12, s16, s12
	s_mul_hi_u32 s17, s16, s0
	s_add_u32 s12, s12, s18
	s_addc_u32 s17, 0, s17
	s_add_u32 s12, s12, s15
	s_mul_hi_u32 s1, s14, s0
	s_addc_u32 s12, s17, s13
	s_addc_u32 s1, s1, 0
	s_mul_i32 s0, s14, s0
	s_add_u32 s0, s12, s0
	s_addc_u32 s12, 0, s1
	s_add_u32 s13, s16, s0
	s_cselect_b64 s[0:1], -1, 0
	s_cmp_lg_u64 s[0:1], 0
	s_addc_u32 s12, s14, s12
	v_mad_u64_u32 v[0:1], s[0:1], v5, s12, 0
	v_mul_hi_u32 v7, v5, s13
	v_add_co_u32_e32 v9, vcc, v7, v0
	v_addc_co_u32_e32 v10, vcc, 0, v1, vcc
	v_mad_u64_u32 v[0:1], s[0:1], v6, s13, 0
	v_mad_u64_u32 v[7:8], s[0:1], v6, s12, 0
	v_add_co_u32_e32 v0, vcc, v9, v0
	v_addc_co_u32_e32 v0, vcc, v10, v1, vcc
	v_addc_co_u32_e32 v1, vcc, 0, v8, vcc
	v_add_co_u32_e32 v7, vcc, v0, v7
	v_addc_co_u32_e32 v8, vcc, 0, v1, vcc
	v_mul_lo_u32 v9, s7, v7
	v_mul_lo_u32 v10, s6, v8
	v_mad_u64_u32 v[0:1], s[0:1], s6, v7, 0
	v_add3_u32 v1, v1, v10, v9
	v_sub_u32_e32 v9, v6, v1
	v_mov_b32_e32 v10, s7
	v_sub_co_u32_e32 v0, vcc, v5, v0
	v_subb_co_u32_e64 v5, s[0:1], v9, v10, vcc
	v_subrev_co_u32_e64 v9, s[0:1], s6, v0
	v_subbrev_co_u32_e64 v5, s[0:1], 0, v5, s[0:1]
	v_cmp_le_u32_e64 s[0:1], s7, v5
	v_cndmask_b32_e64 v10, 0, -1, s[0:1]
	v_cmp_le_u32_e64 s[0:1], s6, v9
	v_cndmask_b32_e64 v9, 0, -1, s[0:1]
	v_cmp_eq_u32_e64 s[0:1], s7, v5
	v_cndmask_b32_e64 v5, v10, v9, s[0:1]
	v_add_co_u32_e64 v9, s[0:1], 2, v7
	v_subb_co_u32_e32 v1, vcc, v6, v1, vcc
	v_addc_co_u32_e64 v10, s[0:1], 0, v8, s[0:1]
	v_cmp_le_u32_e32 vcc, s7, v1
	v_add_co_u32_e64 v11, s[0:1], 1, v7
	v_cndmask_b32_e64 v6, 0, -1, vcc
	v_cmp_le_u32_e32 vcc, s6, v0
	v_addc_co_u32_e64 v12, s[0:1], 0, v8, s[0:1]
	v_cndmask_b32_e64 v0, 0, -1, vcc
	v_cmp_eq_u32_e32 vcc, s7, v1
	v_cmp_ne_u32_e64 s[0:1], 0, v5
	v_cndmask_b32_e32 v0, v6, v0, vcc
	v_cndmask_b32_e64 v5, v12, v10, s[0:1]
	v_cmp_ne_u32_e32 vcc, 0, v0
	v_cndmask_b32_e64 v0, v11, v9, s[0:1]
	v_cndmask_b32_e32 v1, v8, v5, vcc
	v_cndmask_b32_e32 v0, v7, v0, vcc
                                        ; implicit-def: $vgpr5
.LBB79_3:
	s_andn2_saveexec_b64 s[0:1], s[2:3]
	s_cbranch_execz .LBB79_5
; %bb.4:
	v_cvt_f32_u32_e32 v0, s6
	s_sub_i32 s2, 0, s6
	v_rcp_iflag_f32_e32 v0, v0
	v_mul_f32_e32 v0, 0x4f7ffffe, v0
	v_cvt_u32_f32_e32 v0, v0
	v_mul_lo_u32 v1, s2, v0
	v_mul_hi_u32 v1, v0, v1
	v_add_u32_e32 v0, v0, v1
	v_mul_hi_u32 v0, v5, v0
	v_mul_lo_u32 v1, v0, s6
	v_add_u32_e32 v6, 1, v0
	v_sub_u32_e32 v1, v5, v1
	v_subrev_u32_e32 v5, s6, v1
	v_cmp_le_u32_e32 vcc, s6, v1
	v_cndmask_b32_e32 v1, v1, v5, vcc
	v_cndmask_b32_e32 v0, v0, v6, vcc
	v_add_u32_e32 v5, 1, v0
	v_cmp_le_u32_e32 vcc, s6, v1
	v_cndmask_b32_e32 v0, v0, v5, vcc
	v_mov_b32_e32 v1, 0
.LBB79_5:
	s_or_b64 exec, exec, s[0:1]
	v_add_co_u32_e32 v0, vcc, v0, v4
	s_load_dwordx2 s[4:5], s[4:5], 0x10
	v_addc_co_u32_e32 v1, vcc, 0, v1, vcc
	v_add_co_u32_e32 v0, vcc, 1, v0
	v_addc_co_u32_e32 v1, vcc, 0, v1, vcc
	v_cmp_lt_u64_e32 vcc, 1, v[0:1]
	s_mov_b64 s[0:1], 0
                                        ; implicit-def: $vgpr4_vgpr5
	s_and_saveexec_b64 s[2:3], vcc
	s_xor_b64 s[12:13], exec, s[2:3]
	s_cbranch_execnz .LBB79_8
; %bb.6:
	s_andn2_saveexec_b64 s[2:3], s[12:13]
	s_cbranch_execnz .LBB79_11
.LBB79_7:
	s_or_b64 exec, exec, s[2:3]
	s_and_b64 exec, exec, s[0:1]
	s_cbranch_execnz .LBB79_12
	s_branch .LBB79_14
.LBB79_8:
	v_mov_b32_e32 v5, s7
	v_add_co_u32_e32 v4, vcc, s6, v2
	v_lshlrev_b64 v[6:7], 1, v[2:3]
	v_addc_co_u32_e32 v5, vcc, v3, v5, vcc
	v_mov_b32_e32 v9, v1
	s_waitcnt lgkmcnt(0)
	v_mov_b32_e32 v11, s5
	v_add_co_u32_e32 v10, vcc, s4, v6
	v_and_b32_e32 v8, -2, v0
	s_lshl_b64 s[14:15], s[6:7], 1
	v_addc_co_u32_e32 v11, vcc, v11, v7, vcc
	s_lshl_b64 s[18:19], s[6:7], 2
	v_mov_b32_e32 v13, v9
	v_mov_b32_e32 v7, v5
	s_mov_b32 s20, s11
	s_mov_b32 s21, s11
	;; [unrolled: 1-line block ×3, first 2 shown]
	s_mov_b64 s[16:17], 0
	v_mov_b32_e32 v14, s10
	s_movk_i32 s23, 0x7fff
	v_mov_b32_e32 v15, s10
	v_mov_b32_e32 v16, 1
	v_mov_b32_e32 v17, 0x7fc0
	v_mov_b32_e32 v18, s15
	v_mov_b32_e32 v19, s15
	v_mov_b32_e32 v20, s15
	v_mov_b32_e32 v21, s19
	v_mov_b32_e32 v12, v8
	v_mov_b32_e32 v6, v4
	v_mov_b32_e32 v5, v3
	v_mov_b32_e32 v4, v2
.LBB79_9:                               ; =>This Inner Loop Header: Depth=1
	v_ffbh_u32_e32 v22, v7
	v_min_u32_e32 v24, 32, v22
	v_lshlrev_b64 v[22:23], v24, v[6:7]
	v_min_u32_e32 v22, 1, v22
	v_or_b32_e32 v25, v23, v22
	v_ffbh_u32_e32 v22, v5
	v_min_u32_e32 v26, 32, v22
	v_lshlrev_b64 v[22:23], v26, v[4:5]
	v_add_co_u32_e64 v4, s[2:3], s14, v4
	v_min_u32_e32 v22, 1, v22
	v_or_b32_e32 v22, v23, v22
	v_sub_u32_e32 v23, 32, v24
	v_cvt_f32_u32_e32 v24, v25
	v_cvt_f32_u32_e32 v22, v22
	v_ldexp_f32 v23, v24, v23
	v_sub_u32_e32 v24, 32, v26
	v_ldexp_f32 v22, v22, v24
	v_fma_f32 v22, s20, v22, v14
	v_and_b32_sdwa v24, v22, v16 dst_sel:DWORD dst_unused:UNUSED_PAD src0_sel:WORD_1 src1_sel:DWORD
	v_cmp_o_f32_e32 vcc, v22, v22
	v_add3_u32 v22, v22, v24, s23
	v_lshrrev_b32_e32 v22, 16, v22
	v_fma_f32 v23, s21, v23, v15
	v_cndmask_b32_e32 v22, v17, v22, vcc
	v_and_b32_sdwa v24, v23, v16 dst_sel:DWORD dst_unused:UNUSED_PAD src0_sel:WORD_1 src1_sel:DWORD
	global_store_short v[10:11], v22, off
	v_add_co_u32_e32 v22, vcc, s14, v10
	v_cmp_o_f32_e64 s[0:1], v23, v23
	v_add3_u32 v24, v23, v24, s23
	v_addc_co_u32_e32 v23, vcc, v11, v18, vcc
	v_add_co_u32_e32 v12, vcc, -2, v12
	v_addc_co_u32_e32 v13, vcc, -1, v13, vcc
	v_cmp_eq_u64_e32 vcc, 0, v[12:13]
	v_lshrrev_b32_e32 v24, 16, v24
	v_cndmask_b32_e64 v24, v17, v24, s[0:1]
	v_add_co_u32_e64 v6, s[0:1], s22, v6
	s_or_b64 s[16:17], vcc, s[16:17]
	v_add_co_u32_e32 v10, vcc, s18, v10
	v_addc_co_u32_e64 v7, s[0:1], v7, v19, s[0:1]
	v_addc_co_u32_e64 v5, s[0:1], v5, v20, s[2:3]
	v_addc_co_u32_e32 v11, vcc, v11, v21, vcc
	global_store_short v[22:23], v24, off
	s_andn2_b64 exec, exec, s[16:17]
	s_cbranch_execnz .LBB79_9
; %bb.10:
	s_or_b64 exec, exec, s[16:17]
	v_mad_u64_u32 v[2:3], s[0:1], v8, s6, v[2:3]
	v_mul_lo_u32 v4, v8, s7
	v_mul_lo_u32 v5, v9, s6
	v_cmp_ne_u64_e32 vcc, v[0:1], v[8:9]
	s_and_b64 s[0:1], vcc, exec
	v_add3_u32 v3, v5, v3, v4
	v_mov_b32_e32 v4, s14
	v_mov_b32_e32 v5, s15
	s_andn2_saveexec_b64 s[2:3], s[12:13]
	s_cbranch_execz .LBB79_7
.LBB79_11:
	s_lshl_b64 s[12:13], s[6:7], 1
	v_mov_b32_e32 v4, s12
	v_mov_b32_e32 v5, s13
	s_or_b64 s[0:1], s[0:1], exec
	s_or_b64 exec, exec, s[2:3]
	s_and_b64 exec, exec, s[0:1]
	s_cbranch_execz .LBB79_14
.LBB79_12:
	v_lshlrev_b64 v[0:1], 1, v[2:3]
	s_waitcnt lgkmcnt(0)
	v_mov_b32_e32 v6, s5
	v_add_co_u32_e32 v0, vcc, s4, v0
	v_addc_co_u32_e32 v1, vcc, v6, v1, vcc
	s_mov_b64 s[0:1], 0
	v_mov_b32_e32 v6, s10
	s_movk_i32 s2, 0x7fff
	v_mov_b32_e32 v7, 0x7fc0
	v_mov_b32_e32 v8, s7
.LBB79_13:                              ; =>This Inner Loop Header: Depth=1
	v_ffbh_u32_e32 v9, v3
	v_min_u32_e32 v11, 32, v9
	v_lshlrev_b64 v[9:10], v11, v[2:3]
	v_sub_u32_e32 v11, 32, v11
	v_min_u32_e32 v9, 1, v9
	v_or_b32_e32 v9, v10, v9
	v_cvt_f32_u32_e32 v9, v9
	v_add_co_u32_e32 v2, vcc, s6, v2
	v_addc_co_u32_e32 v3, vcc, v3, v8, vcc
	v_ldexp_f32 v9, v9, v11
	v_fma_f32 v9, s11, v9, v6
	v_cmp_le_i64_e32 vcc, s[8:9], v[2:3]
	v_bfe_u32 v10, v9, 16, 1
	v_add3_u32 v10, v9, v10, s2
	s_or_b64 s[0:1], vcc, s[0:1]
	v_lshrrev_b32_e32 v10, 16, v10
	v_cmp_o_f32_e32 vcc, v9, v9
	v_cndmask_b32_e32 v9, v7, v10, vcc
	global_store_short v[0:1], v9, off
	v_add_co_u32_e32 v0, vcc, v0, v4
	v_addc_co_u32_e32 v1, vcc, v1, v5, vcc
	s_andn2_b64 exec, exec, s[0:1]
	s_cbranch_execnz .LBB79_13
.LBB79_14:
	s_endpgm
	.section	.rodata,"a",@progbits
	.p2align	6, 0x0
	.amdhsa_kernel _ZN12_GLOBAL__N_141elementwise_kernel_with_index_grid_strideIlZZZN2at6native15arange_cuda_outERKN3c106ScalarES6_S6_RNS1_6TensorEENKUlvE_clEvENKUlvE7_clEvEUllE_EEvT_T0_PN15function_traitsISD_E11result_typeE
		.amdhsa_group_segment_fixed_size 0
		.amdhsa_private_segment_fixed_size 0
		.amdhsa_kernarg_size 280
		.amdhsa_user_sgpr_count 6
		.amdhsa_user_sgpr_private_segment_buffer 1
		.amdhsa_user_sgpr_dispatch_ptr 0
		.amdhsa_user_sgpr_queue_ptr 0
		.amdhsa_user_sgpr_kernarg_segment_ptr 1
		.amdhsa_user_sgpr_dispatch_id 0
		.amdhsa_user_sgpr_flat_scratch_init 0
		.amdhsa_user_sgpr_private_segment_size 0
		.amdhsa_uses_dynamic_stack 0
		.amdhsa_system_sgpr_private_segment_wavefront_offset 0
		.amdhsa_system_sgpr_workgroup_id_x 1
		.amdhsa_system_sgpr_workgroup_id_y 0
		.amdhsa_system_sgpr_workgroup_id_z 0
		.amdhsa_system_sgpr_workgroup_info 0
		.amdhsa_system_vgpr_workitem_id 0
		.amdhsa_next_free_vgpr 27
		.amdhsa_next_free_sgpr 24
		.amdhsa_reserve_vcc 1
		.amdhsa_reserve_flat_scratch 0
		.amdhsa_float_round_mode_32 0
		.amdhsa_float_round_mode_16_64 0
		.amdhsa_float_denorm_mode_32 3
		.amdhsa_float_denorm_mode_16_64 3
		.amdhsa_dx10_clamp 1
		.amdhsa_ieee_mode 1
		.amdhsa_fp16_overflow 0
		.amdhsa_exception_fp_ieee_invalid_op 0
		.amdhsa_exception_fp_denorm_src 0
		.amdhsa_exception_fp_ieee_div_zero 0
		.amdhsa_exception_fp_ieee_overflow 0
		.amdhsa_exception_fp_ieee_underflow 0
		.amdhsa_exception_fp_ieee_inexact 0
		.amdhsa_exception_int_div_zero 0
	.end_amdhsa_kernel
	.section	.text._ZN12_GLOBAL__N_141elementwise_kernel_with_index_grid_strideIlZZZN2at6native15arange_cuda_outERKN3c106ScalarES6_S6_RNS1_6TensorEENKUlvE_clEvENKUlvE7_clEvEUllE_EEvT_T0_PN15function_traitsISD_E11result_typeE,"axG",@progbits,_ZN12_GLOBAL__N_141elementwise_kernel_with_index_grid_strideIlZZZN2at6native15arange_cuda_outERKN3c106ScalarES6_S6_RNS1_6TensorEENKUlvE_clEvENKUlvE7_clEvEUllE_EEvT_T0_PN15function_traitsISD_E11result_typeE,comdat
.Lfunc_end79:
	.size	_ZN12_GLOBAL__N_141elementwise_kernel_with_index_grid_strideIlZZZN2at6native15arange_cuda_outERKN3c106ScalarES6_S6_RNS1_6TensorEENKUlvE_clEvENKUlvE7_clEvEUllE_EEvT_T0_PN15function_traitsISD_E11result_typeE, .Lfunc_end79-_ZN12_GLOBAL__N_141elementwise_kernel_with_index_grid_strideIlZZZN2at6native15arange_cuda_outERKN3c106ScalarES6_S6_RNS1_6TensorEENKUlvE_clEvENKUlvE7_clEvEUllE_EEvT_T0_PN15function_traitsISD_E11result_typeE
                                        ; -- End function
	.set _ZN12_GLOBAL__N_141elementwise_kernel_with_index_grid_strideIlZZZN2at6native15arange_cuda_outERKN3c106ScalarES6_S6_RNS1_6TensorEENKUlvE_clEvENKUlvE7_clEvEUllE_EEvT_T0_PN15function_traitsISD_E11result_typeE.num_vgpr, 27
	.set _ZN12_GLOBAL__N_141elementwise_kernel_with_index_grid_strideIlZZZN2at6native15arange_cuda_outERKN3c106ScalarES6_S6_RNS1_6TensorEENKUlvE_clEvENKUlvE7_clEvEUllE_EEvT_T0_PN15function_traitsISD_E11result_typeE.num_agpr, 0
	.set _ZN12_GLOBAL__N_141elementwise_kernel_with_index_grid_strideIlZZZN2at6native15arange_cuda_outERKN3c106ScalarES6_S6_RNS1_6TensorEENKUlvE_clEvENKUlvE7_clEvEUllE_EEvT_T0_PN15function_traitsISD_E11result_typeE.numbered_sgpr, 24
	.set _ZN12_GLOBAL__N_141elementwise_kernel_with_index_grid_strideIlZZZN2at6native15arange_cuda_outERKN3c106ScalarES6_S6_RNS1_6TensorEENKUlvE_clEvENKUlvE7_clEvEUllE_EEvT_T0_PN15function_traitsISD_E11result_typeE.num_named_barrier, 0
	.set _ZN12_GLOBAL__N_141elementwise_kernel_with_index_grid_strideIlZZZN2at6native15arange_cuda_outERKN3c106ScalarES6_S6_RNS1_6TensorEENKUlvE_clEvENKUlvE7_clEvEUllE_EEvT_T0_PN15function_traitsISD_E11result_typeE.private_seg_size, 0
	.set _ZN12_GLOBAL__N_141elementwise_kernel_with_index_grid_strideIlZZZN2at6native15arange_cuda_outERKN3c106ScalarES6_S6_RNS1_6TensorEENKUlvE_clEvENKUlvE7_clEvEUllE_EEvT_T0_PN15function_traitsISD_E11result_typeE.uses_vcc, 1
	.set _ZN12_GLOBAL__N_141elementwise_kernel_with_index_grid_strideIlZZZN2at6native15arange_cuda_outERKN3c106ScalarES6_S6_RNS1_6TensorEENKUlvE_clEvENKUlvE7_clEvEUllE_EEvT_T0_PN15function_traitsISD_E11result_typeE.uses_flat_scratch, 0
	.set _ZN12_GLOBAL__N_141elementwise_kernel_with_index_grid_strideIlZZZN2at6native15arange_cuda_outERKN3c106ScalarES6_S6_RNS1_6TensorEENKUlvE_clEvENKUlvE7_clEvEUllE_EEvT_T0_PN15function_traitsISD_E11result_typeE.has_dyn_sized_stack, 0
	.set _ZN12_GLOBAL__N_141elementwise_kernel_with_index_grid_strideIlZZZN2at6native15arange_cuda_outERKN3c106ScalarES6_S6_RNS1_6TensorEENKUlvE_clEvENKUlvE7_clEvEUllE_EEvT_T0_PN15function_traitsISD_E11result_typeE.has_recursion, 0
	.set _ZN12_GLOBAL__N_141elementwise_kernel_with_index_grid_strideIlZZZN2at6native15arange_cuda_outERKN3c106ScalarES6_S6_RNS1_6TensorEENKUlvE_clEvENKUlvE7_clEvEUllE_EEvT_T0_PN15function_traitsISD_E11result_typeE.has_indirect_call, 0
	.section	.AMDGPU.csdata,"",@progbits
; Kernel info:
; codeLenInByte = 1556
; TotalNumSgprs: 28
; NumVgprs: 27
; ScratchSize: 0
; MemoryBound: 0
; FloatMode: 240
; IeeeMode: 1
; LDSByteSize: 0 bytes/workgroup (compile time only)
; SGPRBlocks: 3
; VGPRBlocks: 6
; NumSGPRsForWavesPerEU: 28
; NumVGPRsForWavesPerEU: 27
; Occupancy: 9
; WaveLimiterHint : 0
; COMPUTE_PGM_RSRC2:SCRATCH_EN: 0
; COMPUTE_PGM_RSRC2:USER_SGPR: 6
; COMPUTE_PGM_RSRC2:TRAP_HANDLER: 0
; COMPUTE_PGM_RSRC2:TGID_X_EN: 1
; COMPUTE_PGM_RSRC2:TGID_Y_EN: 0
; COMPUTE_PGM_RSRC2:TGID_Z_EN: 0
; COMPUTE_PGM_RSRC2:TIDIG_COMP_CNT: 0
	.section	.AMDGPU.gpr_maximums,"",@progbits
	.set amdgpu.max_num_vgpr, 38
	.set amdgpu.max_num_agpr, 0
	.set amdgpu.max_num_sgpr, 43
	.section	.AMDGPU.csdata,"",@progbits
	.type	__hip_cuid_84d2266ab8c5c682,@object ; @__hip_cuid_84d2266ab8c5c682
	.section	.bss,"aw",@nobits
	.globl	__hip_cuid_84d2266ab8c5c682
__hip_cuid_84d2266ab8c5c682:
	.byte	0                               ; 0x0
	.size	__hip_cuid_84d2266ab8c5c682, 1

	.ident	"AMD clang version 22.0.0git (https://github.com/RadeonOpenCompute/llvm-project roc-7.2.4 26084 f58b06dce1f9c15707c5f808fd002e18c2accf7e)"
	.section	".note.GNU-stack","",@progbits
	.addrsig
	.addrsig_sym __hip_cuid_84d2266ab8c5c682
	.amdgpu_metadata
---
amdhsa.kernels:
  - .args:
      - .offset:         0
        .size:           4
        .value_kind:     by_value
      - .offset:         8
        .size:           32
        .value_kind:     by_value
      - .address_space:  global
        .offset:         40
        .size:           8
        .value_kind:     global_buffer
      - .offset:         48
        .size:           4
        .value_kind:     hidden_block_count_x
      - .offset:         52
        .size:           4
        .value_kind:     hidden_block_count_y
      - .offset:         56
        .size:           4
        .value_kind:     hidden_block_count_z
      - .offset:         60
        .size:           2
        .value_kind:     hidden_group_size_x
      - .offset:         62
        .size:           2
        .value_kind:     hidden_group_size_y
      - .offset:         64
        .size:           2
        .value_kind:     hidden_group_size_z
      - .offset:         66
        .size:           2
        .value_kind:     hidden_remainder_x
      - .offset:         68
        .size:           2
        .value_kind:     hidden_remainder_y
      - .offset:         70
        .size:           2
        .value_kind:     hidden_remainder_z
      - .offset:         88
        .size:           8
        .value_kind:     hidden_global_offset_x
      - .offset:         96
        .size:           8
        .value_kind:     hidden_global_offset_y
      - .offset:         104
        .size:           8
        .value_kind:     hidden_global_offset_z
      - .offset:         112
        .size:           2
        .value_kind:     hidden_grid_dims
    .group_segment_fixed_size: 0
    .kernarg_segment_align: 8
    .kernarg_segment_size: 304
    .language:       OpenCL C
    .language_version:
      - 2
      - 0
    .max_flat_workgroup_size: 128
    .name:           _ZN12_GLOBAL__N_141elementwise_kernel_with_index_grid_strideIiZZZN2at6native17linspace_cuda_outERKN3c106ScalarES6_lRNS1_6TensorEENKUlvE_clEvENKUlvE_clEvEUllE_EEvT_T0_PN15function_traitsISD_E11result_typeE
    .private_segment_fixed_size: 0
    .sgpr_count:     42
    .sgpr_spill_count: 0
    .symbol:         _ZN12_GLOBAL__N_141elementwise_kernel_with_index_grid_strideIiZZZN2at6native17linspace_cuda_outERKN3c106ScalarES6_lRNS1_6TensorEENKUlvE_clEvENKUlvE_clEvEUllE_EEvT_T0_PN15function_traitsISD_E11result_typeE.kd
    .uniform_work_group_size: 1
    .uses_dynamic_stack: false
    .vgpr_count:     27
    .vgpr_spill_count: 0
    .wavefront_size: 64
  - .args:
      - .offset:         0
        .size:           8
        .value_kind:     by_value
      - .offset:         8
        .size:           32
        .value_kind:     by_value
      - .address_space:  global
        .offset:         40
        .size:           8
        .value_kind:     global_buffer
      - .offset:         48
        .size:           4
        .value_kind:     hidden_block_count_x
      - .offset:         52
        .size:           4
        .value_kind:     hidden_block_count_y
      - .offset:         56
        .size:           4
        .value_kind:     hidden_block_count_z
      - .offset:         60
        .size:           2
        .value_kind:     hidden_group_size_x
      - .offset:         62
        .size:           2
        .value_kind:     hidden_group_size_y
      - .offset:         64
        .size:           2
        .value_kind:     hidden_group_size_z
      - .offset:         66
        .size:           2
        .value_kind:     hidden_remainder_x
      - .offset:         68
        .size:           2
        .value_kind:     hidden_remainder_y
      - .offset:         70
        .size:           2
        .value_kind:     hidden_remainder_z
      - .offset:         88
        .size:           8
        .value_kind:     hidden_global_offset_x
      - .offset:         96
        .size:           8
        .value_kind:     hidden_global_offset_y
      - .offset:         104
        .size:           8
        .value_kind:     hidden_global_offset_z
      - .offset:         112
        .size:           2
        .value_kind:     hidden_grid_dims
    .group_segment_fixed_size: 0
    .kernarg_segment_align: 8
    .kernarg_segment_size: 304
    .language:       OpenCL C
    .language_version:
      - 2
      - 0
    .max_flat_workgroup_size: 128
    .name:           _ZN12_GLOBAL__N_141elementwise_kernel_with_index_grid_strideIlZZZN2at6native17linspace_cuda_outERKN3c106ScalarES6_lRNS1_6TensorEENKUlvE_clEvENKUlvE_clEvEUllE_EEvT_T0_PN15function_traitsISD_E11result_typeE
    .private_segment_fixed_size: 0
    .sgpr_count:     54
    .sgpr_spill_count: 0
    .symbol:         _ZN12_GLOBAL__N_141elementwise_kernel_with_index_grid_strideIlZZZN2at6native17linspace_cuda_outERKN3c106ScalarES6_lRNS1_6TensorEENKUlvE_clEvENKUlvE_clEvEUllE_EEvT_T0_PN15function_traitsISD_E11result_typeE.kd
    .uniform_work_group_size: 1
    .uses_dynamic_stack: false
    .vgpr_count:     30
    .vgpr_spill_count: 0
    .wavefront_size: 64
  - .args:
      - .offset:         0
        .size:           4
        .value_kind:     by_value
      - .offset:         8
        .size:           32
        .value_kind:     by_value
      - .address_space:  global
        .offset:         40
        .size:           8
        .value_kind:     global_buffer
      - .offset:         48
        .size:           4
        .value_kind:     hidden_block_count_x
      - .offset:         52
        .size:           4
        .value_kind:     hidden_block_count_y
      - .offset:         56
        .size:           4
        .value_kind:     hidden_block_count_z
      - .offset:         60
        .size:           2
        .value_kind:     hidden_group_size_x
      - .offset:         62
        .size:           2
        .value_kind:     hidden_group_size_y
      - .offset:         64
        .size:           2
        .value_kind:     hidden_group_size_z
      - .offset:         66
        .size:           2
        .value_kind:     hidden_remainder_x
      - .offset:         68
        .size:           2
        .value_kind:     hidden_remainder_y
      - .offset:         70
        .size:           2
        .value_kind:     hidden_remainder_z
      - .offset:         88
        .size:           8
        .value_kind:     hidden_global_offset_x
      - .offset:         96
        .size:           8
        .value_kind:     hidden_global_offset_y
      - .offset:         104
        .size:           8
        .value_kind:     hidden_global_offset_z
      - .offset:         112
        .size:           2
        .value_kind:     hidden_grid_dims
    .group_segment_fixed_size: 0
    .kernarg_segment_align: 8
    .kernarg_segment_size: 304
    .language:       OpenCL C
    .language_version:
      - 2
      - 0
    .max_flat_workgroup_size: 128
    .name:           _ZN12_GLOBAL__N_141elementwise_kernel_with_index_grid_strideIiZZZN2at6native17linspace_cuda_outERKN3c106ScalarES6_lRNS1_6TensorEENKUlvE_clEvENKUlvE0_clEvEUllE_EEvT_T0_PN15function_traitsISD_E11result_typeE
    .private_segment_fixed_size: 0
    .sgpr_count:     42
    .sgpr_spill_count: 0
    .symbol:         _ZN12_GLOBAL__N_141elementwise_kernel_with_index_grid_strideIiZZZN2at6native17linspace_cuda_outERKN3c106ScalarES6_lRNS1_6TensorEENKUlvE_clEvENKUlvE0_clEvEUllE_EEvT_T0_PN15function_traitsISD_E11result_typeE.kd
    .uniform_work_group_size: 1
    .uses_dynamic_stack: false
    .vgpr_count:     27
    .vgpr_spill_count: 0
    .wavefront_size: 64
  - .args:
      - .offset:         0
        .size:           8
        .value_kind:     by_value
      - .offset:         8
        .size:           32
        .value_kind:     by_value
      - .address_space:  global
        .offset:         40
        .size:           8
        .value_kind:     global_buffer
      - .offset:         48
        .size:           4
        .value_kind:     hidden_block_count_x
      - .offset:         52
        .size:           4
        .value_kind:     hidden_block_count_y
      - .offset:         56
        .size:           4
        .value_kind:     hidden_block_count_z
      - .offset:         60
        .size:           2
        .value_kind:     hidden_group_size_x
      - .offset:         62
        .size:           2
        .value_kind:     hidden_group_size_y
      - .offset:         64
        .size:           2
        .value_kind:     hidden_group_size_z
      - .offset:         66
        .size:           2
        .value_kind:     hidden_remainder_x
      - .offset:         68
        .size:           2
        .value_kind:     hidden_remainder_y
      - .offset:         70
        .size:           2
        .value_kind:     hidden_remainder_z
      - .offset:         88
        .size:           8
        .value_kind:     hidden_global_offset_x
      - .offset:         96
        .size:           8
        .value_kind:     hidden_global_offset_y
      - .offset:         104
        .size:           8
        .value_kind:     hidden_global_offset_z
      - .offset:         112
        .size:           2
        .value_kind:     hidden_grid_dims
    .group_segment_fixed_size: 0
    .kernarg_segment_align: 8
    .kernarg_segment_size: 304
    .language:       OpenCL C
    .language_version:
      - 2
      - 0
    .max_flat_workgroup_size: 128
    .name:           _ZN12_GLOBAL__N_141elementwise_kernel_with_index_grid_strideIlZZZN2at6native17linspace_cuda_outERKN3c106ScalarES6_lRNS1_6TensorEENKUlvE_clEvENKUlvE0_clEvEUllE_EEvT_T0_PN15function_traitsISD_E11result_typeE
    .private_segment_fixed_size: 0
    .sgpr_count:     54
    .sgpr_spill_count: 0
    .symbol:         _ZN12_GLOBAL__N_141elementwise_kernel_with_index_grid_strideIlZZZN2at6native17linspace_cuda_outERKN3c106ScalarES6_lRNS1_6TensorEENKUlvE_clEvENKUlvE0_clEvEUllE_EEvT_T0_PN15function_traitsISD_E11result_typeE.kd
    .uniform_work_group_size: 1
    .uses_dynamic_stack: false
    .vgpr_count:     30
    .vgpr_spill_count: 0
    .wavefront_size: 64
  - .args:
      - .offset:         0
        .size:           4
        .value_kind:     by_value
      - .offset:         8
        .size:           32
        .value_kind:     by_value
      - .address_space:  global
        .offset:         40
        .size:           8
        .value_kind:     global_buffer
      - .offset:         48
        .size:           4
        .value_kind:     hidden_block_count_x
      - .offset:         52
        .size:           4
        .value_kind:     hidden_block_count_y
      - .offset:         56
        .size:           4
        .value_kind:     hidden_block_count_z
      - .offset:         60
        .size:           2
        .value_kind:     hidden_group_size_x
      - .offset:         62
        .size:           2
        .value_kind:     hidden_group_size_y
      - .offset:         64
        .size:           2
        .value_kind:     hidden_group_size_z
      - .offset:         66
        .size:           2
        .value_kind:     hidden_remainder_x
      - .offset:         68
        .size:           2
        .value_kind:     hidden_remainder_y
      - .offset:         70
        .size:           2
        .value_kind:     hidden_remainder_z
      - .offset:         88
        .size:           8
        .value_kind:     hidden_global_offset_x
      - .offset:         96
        .size:           8
        .value_kind:     hidden_global_offset_y
      - .offset:         104
        .size:           8
        .value_kind:     hidden_global_offset_z
      - .offset:         112
        .size:           2
        .value_kind:     hidden_grid_dims
    .group_segment_fixed_size: 0
    .kernarg_segment_align: 8
    .kernarg_segment_size: 304
    .language:       OpenCL C
    .language_version:
      - 2
      - 0
    .max_flat_workgroup_size: 128
    .name:           _ZN12_GLOBAL__N_141elementwise_kernel_with_index_grid_strideIiZZZN2at6native17linspace_cuda_outERKN3c106ScalarES6_lRNS1_6TensorEENKUlvE_clEvENKUlvE1_clEvEUllE_EEvT_T0_PN15function_traitsISD_E11result_typeE
    .private_segment_fixed_size: 0
    .sgpr_count:     20
    .sgpr_spill_count: 0
    .symbol:         _ZN12_GLOBAL__N_141elementwise_kernel_with_index_grid_strideIiZZZN2at6native17linspace_cuda_outERKN3c106ScalarES6_lRNS1_6TensorEENKUlvE_clEvENKUlvE1_clEvEUllE_EEvT_T0_PN15function_traitsISD_E11result_typeE.kd
    .uniform_work_group_size: 1
    .uses_dynamic_stack: false
    .vgpr_count:     13
    .vgpr_spill_count: 0
    .wavefront_size: 64
  - .args:
      - .offset:         0
        .size:           8
        .value_kind:     by_value
      - .offset:         8
        .size:           32
        .value_kind:     by_value
      - .address_space:  global
        .offset:         40
        .size:           8
        .value_kind:     global_buffer
      - .offset:         48
        .size:           4
        .value_kind:     hidden_block_count_x
      - .offset:         52
        .size:           4
        .value_kind:     hidden_block_count_y
      - .offset:         56
        .size:           4
        .value_kind:     hidden_block_count_z
      - .offset:         60
        .size:           2
        .value_kind:     hidden_group_size_x
      - .offset:         62
        .size:           2
        .value_kind:     hidden_group_size_y
      - .offset:         64
        .size:           2
        .value_kind:     hidden_group_size_z
      - .offset:         66
        .size:           2
        .value_kind:     hidden_remainder_x
      - .offset:         68
        .size:           2
        .value_kind:     hidden_remainder_y
      - .offset:         70
        .size:           2
        .value_kind:     hidden_remainder_z
      - .offset:         88
        .size:           8
        .value_kind:     hidden_global_offset_x
      - .offset:         96
        .size:           8
        .value_kind:     hidden_global_offset_y
      - .offset:         104
        .size:           8
        .value_kind:     hidden_global_offset_z
      - .offset:         112
        .size:           2
        .value_kind:     hidden_grid_dims
    .group_segment_fixed_size: 0
    .kernarg_segment_align: 8
    .kernarg_segment_size: 304
    .language:       OpenCL C
    .language_version:
      - 2
      - 0
    .max_flat_workgroup_size: 128
    .name:           _ZN12_GLOBAL__N_141elementwise_kernel_with_index_grid_strideIlZZZN2at6native17linspace_cuda_outERKN3c106ScalarES6_lRNS1_6TensorEENKUlvE_clEvENKUlvE1_clEvEUllE_EEvT_T0_PN15function_traitsISD_E11result_typeE
    .private_segment_fixed_size: 0
    .sgpr_count:     24
    .sgpr_spill_count: 0
    .symbol:         _ZN12_GLOBAL__N_141elementwise_kernel_with_index_grid_strideIlZZZN2at6native17linspace_cuda_outERKN3c106ScalarES6_lRNS1_6TensorEENKUlvE_clEvENKUlvE1_clEvEUllE_EEvT_T0_PN15function_traitsISD_E11result_typeE.kd
    .uniform_work_group_size: 1
    .uses_dynamic_stack: false
    .vgpr_count:     13
    .vgpr_spill_count: 0
    .wavefront_size: 64
  - .args:
      - .offset:         0
        .size:           4
        .value_kind:     by_value
      - .offset:         8
        .size:           40
        .value_kind:     by_value
      - .address_space:  global
        .offset:         48
        .size:           8
        .value_kind:     global_buffer
      - .offset:         56
        .size:           4
        .value_kind:     hidden_block_count_x
      - .offset:         60
        .size:           4
        .value_kind:     hidden_block_count_y
      - .offset:         64
        .size:           4
        .value_kind:     hidden_block_count_z
      - .offset:         68
        .size:           2
        .value_kind:     hidden_group_size_x
      - .offset:         70
        .size:           2
        .value_kind:     hidden_group_size_y
      - .offset:         72
        .size:           2
        .value_kind:     hidden_group_size_z
      - .offset:         74
        .size:           2
        .value_kind:     hidden_remainder_x
      - .offset:         76
        .size:           2
        .value_kind:     hidden_remainder_y
      - .offset:         78
        .size:           2
        .value_kind:     hidden_remainder_z
      - .offset:         96
        .size:           8
        .value_kind:     hidden_global_offset_x
      - .offset:         104
        .size:           8
        .value_kind:     hidden_global_offset_y
      - .offset:         112
        .size:           8
        .value_kind:     hidden_global_offset_z
      - .offset:         120
        .size:           2
        .value_kind:     hidden_grid_dims
    .group_segment_fixed_size: 0
    .kernarg_segment_align: 8
    .kernarg_segment_size: 312
    .language:       OpenCL C
    .language_version:
      - 2
      - 0
    .max_flat_workgroup_size: 128
    .name:           _ZN12_GLOBAL__N_141elementwise_kernel_with_index_grid_strideIiZZZN2at6native17linspace_cuda_outERKN3c106ScalarES6_lRNS1_6TensorEENKUlvE_clEvENKUlvE2_clEvEUllE_EEvT_T0_PN15function_traitsISD_E11result_typeE
    .private_segment_fixed_size: 0
    .sgpr_count:     22
    .sgpr_spill_count: 0
    .symbol:         _ZN12_GLOBAL__N_141elementwise_kernel_with_index_grid_strideIiZZZN2at6native17linspace_cuda_outERKN3c106ScalarES6_lRNS1_6TensorEENKUlvE_clEvENKUlvE2_clEvEUllE_EEvT_T0_PN15function_traitsISD_E11result_typeE.kd
    .uniform_work_group_size: 1
    .uses_dynamic_stack: false
    .vgpr_count:     14
    .vgpr_spill_count: 0
    .wavefront_size: 64
  - .args:
      - .offset:         0
        .size:           8
        .value_kind:     by_value
      - .offset:         8
        .size:           40
        .value_kind:     by_value
      - .address_space:  global
        .offset:         48
        .size:           8
        .value_kind:     global_buffer
      - .offset:         56
        .size:           4
        .value_kind:     hidden_block_count_x
      - .offset:         60
        .size:           4
        .value_kind:     hidden_block_count_y
      - .offset:         64
        .size:           4
        .value_kind:     hidden_block_count_z
      - .offset:         68
        .size:           2
        .value_kind:     hidden_group_size_x
      - .offset:         70
        .size:           2
        .value_kind:     hidden_group_size_y
      - .offset:         72
        .size:           2
        .value_kind:     hidden_group_size_z
      - .offset:         74
        .size:           2
        .value_kind:     hidden_remainder_x
      - .offset:         76
        .size:           2
        .value_kind:     hidden_remainder_y
      - .offset:         78
        .size:           2
        .value_kind:     hidden_remainder_z
      - .offset:         96
        .size:           8
        .value_kind:     hidden_global_offset_x
      - .offset:         104
        .size:           8
        .value_kind:     hidden_global_offset_y
      - .offset:         112
        .size:           8
        .value_kind:     hidden_global_offset_z
      - .offset:         120
        .size:           2
        .value_kind:     hidden_grid_dims
    .group_segment_fixed_size: 0
    .kernarg_segment_align: 8
    .kernarg_segment_size: 312
    .language:       OpenCL C
    .language_version:
      - 2
      - 0
    .max_flat_workgroup_size: 128
    .name:           _ZN12_GLOBAL__N_141elementwise_kernel_with_index_grid_strideIlZZZN2at6native17linspace_cuda_outERKN3c106ScalarES6_lRNS1_6TensorEENKUlvE_clEvENKUlvE2_clEvEUllE_EEvT_T0_PN15function_traitsISD_E11result_typeE
    .private_segment_fixed_size: 0
    .sgpr_count:     24
    .sgpr_spill_count: 0
    .symbol:         _ZN12_GLOBAL__N_141elementwise_kernel_with_index_grid_strideIlZZZN2at6native17linspace_cuda_outERKN3c106ScalarES6_lRNS1_6TensorEENKUlvE_clEvENKUlvE2_clEvEUllE_EEvT_T0_PN15function_traitsISD_E11result_typeE.kd
    .uniform_work_group_size: 1
    .uses_dynamic_stack: false
    .vgpr_count:     14
    .vgpr_spill_count: 0
    .wavefront_size: 64
  - .args:
      - .offset:         0
        .size:           4
        .value_kind:     by_value
      - .offset:         8
        .size:           32
        .value_kind:     by_value
      - .address_space:  global
        .offset:         40
        .size:           8
        .value_kind:     global_buffer
      - .offset:         48
        .size:           4
        .value_kind:     hidden_block_count_x
      - .offset:         52
        .size:           4
        .value_kind:     hidden_block_count_y
      - .offset:         56
        .size:           4
        .value_kind:     hidden_block_count_z
      - .offset:         60
        .size:           2
        .value_kind:     hidden_group_size_x
      - .offset:         62
        .size:           2
        .value_kind:     hidden_group_size_y
      - .offset:         64
        .size:           2
        .value_kind:     hidden_group_size_z
      - .offset:         66
        .size:           2
        .value_kind:     hidden_remainder_x
      - .offset:         68
        .size:           2
        .value_kind:     hidden_remainder_y
      - .offset:         70
        .size:           2
        .value_kind:     hidden_remainder_z
      - .offset:         88
        .size:           8
        .value_kind:     hidden_global_offset_x
      - .offset:         96
        .size:           8
        .value_kind:     hidden_global_offset_y
      - .offset:         104
        .size:           8
        .value_kind:     hidden_global_offset_z
      - .offset:         112
        .size:           2
        .value_kind:     hidden_grid_dims
    .group_segment_fixed_size: 0
    .kernarg_segment_align: 8
    .kernarg_segment_size: 304
    .language:       OpenCL C
    .language_version:
      - 2
      - 0
    .max_flat_workgroup_size: 128
    .name:           _ZN12_GLOBAL__N_141elementwise_kernel_with_index_grid_strideIiZZZN2at6native17linspace_cuda_outERKN3c106ScalarES6_lRNS1_6TensorEENKUlvE_clEvENKUlvE3_clEvEUllE_EEvT_T0_PN15function_traitsISD_E11result_typeE
    .private_segment_fixed_size: 0
    .sgpr_count:     29
    .sgpr_spill_count: 0
    .symbol:         _ZN12_GLOBAL__N_141elementwise_kernel_with_index_grid_strideIiZZZN2at6native17linspace_cuda_outERKN3c106ScalarES6_lRNS1_6TensorEENKUlvE_clEvENKUlvE3_clEvEUllE_EEvT_T0_PN15function_traitsISD_E11result_typeE.kd
    .uniform_work_group_size: 1
    .uses_dynamic_stack: false
    .vgpr_count:     24
    .vgpr_spill_count: 0
    .wavefront_size: 64
  - .args:
      - .offset:         0
        .size:           8
        .value_kind:     by_value
      - .offset:         8
        .size:           32
        .value_kind:     by_value
      - .address_space:  global
        .offset:         40
        .size:           8
        .value_kind:     global_buffer
      - .offset:         48
        .size:           4
        .value_kind:     hidden_block_count_x
      - .offset:         52
        .size:           4
        .value_kind:     hidden_block_count_y
      - .offset:         56
        .size:           4
        .value_kind:     hidden_block_count_z
      - .offset:         60
        .size:           2
        .value_kind:     hidden_group_size_x
      - .offset:         62
        .size:           2
        .value_kind:     hidden_group_size_y
      - .offset:         64
        .size:           2
        .value_kind:     hidden_group_size_z
      - .offset:         66
        .size:           2
        .value_kind:     hidden_remainder_x
      - .offset:         68
        .size:           2
        .value_kind:     hidden_remainder_y
      - .offset:         70
        .size:           2
        .value_kind:     hidden_remainder_z
      - .offset:         88
        .size:           8
        .value_kind:     hidden_global_offset_x
      - .offset:         96
        .size:           8
        .value_kind:     hidden_global_offset_y
      - .offset:         104
        .size:           8
        .value_kind:     hidden_global_offset_z
      - .offset:         112
        .size:           2
        .value_kind:     hidden_grid_dims
    .group_segment_fixed_size: 0
    .kernarg_segment_align: 8
    .kernarg_segment_size: 304
    .language:       OpenCL C
    .language_version:
      - 2
      - 0
    .max_flat_workgroup_size: 128
    .name:           _ZN12_GLOBAL__N_141elementwise_kernel_with_index_grid_strideIlZZZN2at6native17linspace_cuda_outERKN3c106ScalarES6_lRNS1_6TensorEENKUlvE_clEvENKUlvE3_clEvEUllE_EEvT_T0_PN15function_traitsISD_E11result_typeE
    .private_segment_fixed_size: 0
    .sgpr_count:     34
    .sgpr_spill_count: 0
    .symbol:         _ZN12_GLOBAL__N_141elementwise_kernel_with_index_grid_strideIlZZZN2at6native17linspace_cuda_outERKN3c106ScalarES6_lRNS1_6TensorEENKUlvE_clEvENKUlvE3_clEvEUllE_EEvT_T0_PN15function_traitsISD_E11result_typeE.kd
    .uniform_work_group_size: 1
    .uses_dynamic_stack: false
    .vgpr_count:     28
    .vgpr_spill_count: 0
    .wavefront_size: 64
  - .args:
      - .offset:         0
        .size:           4
        .value_kind:     by_value
      - .offset:         8
        .size:           40
        .value_kind:     by_value
      - .address_space:  global
        .offset:         48
        .size:           8
        .value_kind:     global_buffer
      - .offset:         56
        .size:           4
        .value_kind:     hidden_block_count_x
      - .offset:         60
        .size:           4
        .value_kind:     hidden_block_count_y
      - .offset:         64
        .size:           4
        .value_kind:     hidden_block_count_z
      - .offset:         68
        .size:           2
        .value_kind:     hidden_group_size_x
      - .offset:         70
        .size:           2
        .value_kind:     hidden_group_size_y
      - .offset:         72
        .size:           2
        .value_kind:     hidden_group_size_z
      - .offset:         74
        .size:           2
        .value_kind:     hidden_remainder_x
      - .offset:         76
        .size:           2
        .value_kind:     hidden_remainder_y
      - .offset:         78
        .size:           2
        .value_kind:     hidden_remainder_z
      - .offset:         96
        .size:           8
        .value_kind:     hidden_global_offset_x
      - .offset:         104
        .size:           8
        .value_kind:     hidden_global_offset_y
      - .offset:         112
        .size:           8
        .value_kind:     hidden_global_offset_z
      - .offset:         120
        .size:           2
        .value_kind:     hidden_grid_dims
    .group_segment_fixed_size: 0
    .kernarg_segment_align: 8
    .kernarg_segment_size: 312
    .language:       OpenCL C
    .language_version:
      - 2
      - 0
    .max_flat_workgroup_size: 128
    .name:           _ZN12_GLOBAL__N_141elementwise_kernel_with_index_grid_strideIiZZZN2at6native17linspace_cuda_outERKN3c106ScalarES6_lRNS1_6TensorEENKUlvE0_clEvENKUlvE_clEvEUllE_EEvT_T0_PN15function_traitsISD_E11result_typeE
    .private_segment_fixed_size: 0
    .sgpr_count:     23
    .sgpr_spill_count: 0
    .symbol:         _ZN12_GLOBAL__N_141elementwise_kernel_with_index_grid_strideIiZZZN2at6native17linspace_cuda_outERKN3c106ScalarES6_lRNS1_6TensorEENKUlvE0_clEvENKUlvE_clEvEUllE_EEvT_T0_PN15function_traitsISD_E11result_typeE.kd
    .uniform_work_group_size: 1
    .uses_dynamic_stack: false
    .vgpr_count:     12
    .vgpr_spill_count: 0
    .wavefront_size: 64
  - .args:
      - .offset:         0
        .size:           8
        .value_kind:     by_value
      - .offset:         8
        .size:           40
        .value_kind:     by_value
      - .address_space:  global
        .offset:         48
        .size:           8
        .value_kind:     global_buffer
      - .offset:         56
        .size:           4
        .value_kind:     hidden_block_count_x
      - .offset:         60
        .size:           4
        .value_kind:     hidden_block_count_y
      - .offset:         64
        .size:           4
        .value_kind:     hidden_block_count_z
      - .offset:         68
        .size:           2
        .value_kind:     hidden_group_size_x
      - .offset:         70
        .size:           2
        .value_kind:     hidden_group_size_y
      - .offset:         72
        .size:           2
        .value_kind:     hidden_group_size_z
      - .offset:         74
        .size:           2
        .value_kind:     hidden_remainder_x
      - .offset:         76
        .size:           2
        .value_kind:     hidden_remainder_y
      - .offset:         78
        .size:           2
        .value_kind:     hidden_remainder_z
      - .offset:         96
        .size:           8
        .value_kind:     hidden_global_offset_x
      - .offset:         104
        .size:           8
        .value_kind:     hidden_global_offset_y
      - .offset:         112
        .size:           8
        .value_kind:     hidden_global_offset_z
      - .offset:         120
        .size:           2
        .value_kind:     hidden_grid_dims
    .group_segment_fixed_size: 0
    .kernarg_segment_align: 8
    .kernarg_segment_size: 312
    .language:       OpenCL C
    .language_version:
      - 2
      - 0
    .max_flat_workgroup_size: 128
    .name:           _ZN12_GLOBAL__N_141elementwise_kernel_with_index_grid_strideIlZZZN2at6native17linspace_cuda_outERKN3c106ScalarES6_lRNS1_6TensorEENKUlvE0_clEvENKUlvE_clEvEUllE_EEvT_T0_PN15function_traitsISD_E11result_typeE
    .private_segment_fixed_size: 0
    .sgpr_count:     28
    .sgpr_spill_count: 0
    .symbol:         _ZN12_GLOBAL__N_141elementwise_kernel_with_index_grid_strideIlZZZN2at6native17linspace_cuda_outERKN3c106ScalarES6_lRNS1_6TensorEENKUlvE0_clEvENKUlvE_clEvEUllE_EEvT_T0_PN15function_traitsISD_E11result_typeE.kd
    .uniform_work_group_size: 1
    .uses_dynamic_stack: false
    .vgpr_count:     12
    .vgpr_spill_count: 0
    .wavefront_size: 64
  - .args:
      - .offset:         0
        .size:           4
        .value_kind:     by_value
      - .offset:         8
        .size:           32
        .value_kind:     by_value
      - .address_space:  global
        .offset:         40
        .size:           8
        .value_kind:     global_buffer
      - .offset:         48
        .size:           4
        .value_kind:     hidden_block_count_x
      - .offset:         52
        .size:           4
        .value_kind:     hidden_block_count_y
      - .offset:         56
        .size:           4
        .value_kind:     hidden_block_count_z
      - .offset:         60
        .size:           2
        .value_kind:     hidden_group_size_x
      - .offset:         62
        .size:           2
        .value_kind:     hidden_group_size_y
      - .offset:         64
        .size:           2
        .value_kind:     hidden_group_size_z
      - .offset:         66
        .size:           2
        .value_kind:     hidden_remainder_x
      - .offset:         68
        .size:           2
        .value_kind:     hidden_remainder_y
      - .offset:         70
        .size:           2
        .value_kind:     hidden_remainder_z
      - .offset:         88
        .size:           8
        .value_kind:     hidden_global_offset_x
      - .offset:         96
        .size:           8
        .value_kind:     hidden_global_offset_y
      - .offset:         104
        .size:           8
        .value_kind:     hidden_global_offset_z
      - .offset:         112
        .size:           2
        .value_kind:     hidden_grid_dims
    .group_segment_fixed_size: 0
    .kernarg_segment_align: 8
    .kernarg_segment_size: 304
    .language:       OpenCL C
    .language_version:
      - 2
      - 0
    .max_flat_workgroup_size: 128
    .name:           _ZN12_GLOBAL__N_141elementwise_kernel_with_index_grid_strideIiZZZN2at6native17linspace_cuda_outERKN3c106ScalarES6_lRNS1_6TensorEENKUlvE0_clEvENKUlvE0_clEvEUllE_EEvT_T0_PN15function_traitsISD_E11result_typeE
    .private_segment_fixed_size: 0
    .sgpr_count:     20
    .sgpr_spill_count: 0
    .symbol:         _ZN12_GLOBAL__N_141elementwise_kernel_with_index_grid_strideIiZZZN2at6native17linspace_cuda_outERKN3c106ScalarES6_lRNS1_6TensorEENKUlvE0_clEvENKUlvE0_clEvEUllE_EEvT_T0_PN15function_traitsISD_E11result_typeE.kd
    .uniform_work_group_size: 1
    .uses_dynamic_stack: false
    .vgpr_count:     11
    .vgpr_spill_count: 0
    .wavefront_size: 64
  - .args:
      - .offset:         0
        .size:           8
        .value_kind:     by_value
      - .offset:         8
        .size:           32
        .value_kind:     by_value
      - .address_space:  global
        .offset:         40
        .size:           8
        .value_kind:     global_buffer
      - .offset:         48
        .size:           4
        .value_kind:     hidden_block_count_x
      - .offset:         52
        .size:           4
        .value_kind:     hidden_block_count_y
      - .offset:         56
        .size:           4
        .value_kind:     hidden_block_count_z
      - .offset:         60
        .size:           2
        .value_kind:     hidden_group_size_x
      - .offset:         62
        .size:           2
        .value_kind:     hidden_group_size_y
      - .offset:         64
        .size:           2
        .value_kind:     hidden_group_size_z
      - .offset:         66
        .size:           2
        .value_kind:     hidden_remainder_x
      - .offset:         68
        .size:           2
        .value_kind:     hidden_remainder_y
      - .offset:         70
        .size:           2
        .value_kind:     hidden_remainder_z
      - .offset:         88
        .size:           8
        .value_kind:     hidden_global_offset_x
      - .offset:         96
        .size:           8
        .value_kind:     hidden_global_offset_y
      - .offset:         104
        .size:           8
        .value_kind:     hidden_global_offset_z
      - .offset:         112
        .size:           2
        .value_kind:     hidden_grid_dims
    .group_segment_fixed_size: 0
    .kernarg_segment_align: 8
    .kernarg_segment_size: 304
    .language:       OpenCL C
    .language_version:
      - 2
      - 0
    .max_flat_workgroup_size: 128
    .name:           _ZN12_GLOBAL__N_141elementwise_kernel_with_index_grid_strideIlZZZN2at6native17linspace_cuda_outERKN3c106ScalarES6_lRNS1_6TensorEENKUlvE0_clEvENKUlvE0_clEvEUllE_EEvT_T0_PN15function_traitsISD_E11result_typeE
    .private_segment_fixed_size: 0
    .sgpr_count:     21
    .sgpr_spill_count: 0
    .symbol:         _ZN12_GLOBAL__N_141elementwise_kernel_with_index_grid_strideIlZZZN2at6native17linspace_cuda_outERKN3c106ScalarES6_lRNS1_6TensorEENKUlvE0_clEvENKUlvE0_clEvEUllE_EEvT_T0_PN15function_traitsISD_E11result_typeE.kd
    .uniform_work_group_size: 1
    .uses_dynamic_stack: false
    .vgpr_count:     11
    .vgpr_spill_count: 0
    .wavefront_size: 64
  - .args:
      - .offset:         0
        .size:           4
        .value_kind:     by_value
      - .offset:         16
        .size:           80
        .value_kind:     by_value
      - .address_space:  global
        .offset:         96
        .size:           8
        .value_kind:     global_buffer
      - .offset:         104
        .size:           4
        .value_kind:     hidden_block_count_x
      - .offset:         108
        .size:           4
        .value_kind:     hidden_block_count_y
      - .offset:         112
        .size:           4
        .value_kind:     hidden_block_count_z
      - .offset:         116
        .size:           2
        .value_kind:     hidden_group_size_x
      - .offset:         118
        .size:           2
        .value_kind:     hidden_group_size_y
      - .offset:         120
        .size:           2
        .value_kind:     hidden_group_size_z
      - .offset:         122
        .size:           2
        .value_kind:     hidden_remainder_x
      - .offset:         124
        .size:           2
        .value_kind:     hidden_remainder_y
      - .offset:         126
        .size:           2
        .value_kind:     hidden_remainder_z
      - .offset:         144
        .size:           8
        .value_kind:     hidden_global_offset_x
      - .offset:         152
        .size:           8
        .value_kind:     hidden_global_offset_y
      - .offset:         160
        .size:           8
        .value_kind:     hidden_global_offset_z
      - .offset:         168
        .size:           2
        .value_kind:     hidden_grid_dims
    .group_segment_fixed_size: 0
    .kernarg_segment_align: 16
    .kernarg_segment_size: 360
    .language:       OpenCL C
    .language_version:
      - 2
      - 0
    .max_flat_workgroup_size: 128
    .name:           _ZN12_GLOBAL__N_141elementwise_kernel_with_index_grid_strideIiZZZN2at6native17linspace_cuda_outERKN3c106ScalarES6_lRNS1_6TensorEENKUlvE0_clEvENKUlvE1_clEvEUllE_EEvT_T0_PN15function_traitsISD_E11result_typeE
    .private_segment_fixed_size: 0
    .sgpr_count:     30
    .sgpr_spill_count: 0
    .symbol:         _ZN12_GLOBAL__N_141elementwise_kernel_with_index_grid_strideIiZZZN2at6native17linspace_cuda_outERKN3c106ScalarES6_lRNS1_6TensorEENKUlvE0_clEvENKUlvE1_clEvEUllE_EEvT_T0_PN15function_traitsISD_E11result_typeE.kd
    .uniform_work_group_size: 1
    .uses_dynamic_stack: false
    .vgpr_count:     12
    .vgpr_spill_count: 0
    .wavefront_size: 64
  - .args:
      - .offset:         0
        .size:           8
        .value_kind:     by_value
      - .offset:         16
        .size:           80
        .value_kind:     by_value
      - .address_space:  global
        .offset:         96
        .size:           8
        .value_kind:     global_buffer
      - .offset:         104
        .size:           4
        .value_kind:     hidden_block_count_x
      - .offset:         108
        .size:           4
        .value_kind:     hidden_block_count_y
      - .offset:         112
        .size:           4
        .value_kind:     hidden_block_count_z
      - .offset:         116
        .size:           2
        .value_kind:     hidden_group_size_x
      - .offset:         118
        .size:           2
        .value_kind:     hidden_group_size_y
      - .offset:         120
        .size:           2
        .value_kind:     hidden_group_size_z
      - .offset:         122
        .size:           2
        .value_kind:     hidden_remainder_x
      - .offset:         124
        .size:           2
        .value_kind:     hidden_remainder_y
      - .offset:         126
        .size:           2
        .value_kind:     hidden_remainder_z
      - .offset:         144
        .size:           8
        .value_kind:     hidden_global_offset_x
      - .offset:         152
        .size:           8
        .value_kind:     hidden_global_offset_y
      - .offset:         160
        .size:           8
        .value_kind:     hidden_global_offset_z
      - .offset:         168
        .size:           2
        .value_kind:     hidden_grid_dims
    .group_segment_fixed_size: 0
    .kernarg_segment_align: 16
    .kernarg_segment_size: 360
    .language:       OpenCL C
    .language_version:
      - 2
      - 0
    .max_flat_workgroup_size: 128
    .name:           _ZN12_GLOBAL__N_141elementwise_kernel_with_index_grid_strideIlZZZN2at6native17linspace_cuda_outERKN3c106ScalarES6_lRNS1_6TensorEENKUlvE0_clEvENKUlvE1_clEvEUllE_EEvT_T0_PN15function_traitsISD_E11result_typeE
    .private_segment_fixed_size: 0
    .sgpr_count:     30
    .sgpr_spill_count: 0
    .symbol:         _ZN12_GLOBAL__N_141elementwise_kernel_with_index_grid_strideIlZZZN2at6native17linspace_cuda_outERKN3c106ScalarES6_lRNS1_6TensorEENKUlvE0_clEvENKUlvE1_clEvEUllE_EEvT_T0_PN15function_traitsISD_E11result_typeE.kd
    .uniform_work_group_size: 1
    .uses_dynamic_stack: false
    .vgpr_count:     12
    .vgpr_spill_count: 0
    .wavefront_size: 64
  - .args:
      - .offset:         0
        .size:           4
        .value_kind:     by_value
      - .offset:         8
        .size:           40
        .value_kind:     by_value
      - .address_space:  global
        .offset:         48
        .size:           8
        .value_kind:     global_buffer
      - .offset:         56
        .size:           4
        .value_kind:     hidden_block_count_x
      - .offset:         60
        .size:           4
        .value_kind:     hidden_block_count_y
      - .offset:         64
        .size:           4
        .value_kind:     hidden_block_count_z
      - .offset:         68
        .size:           2
        .value_kind:     hidden_group_size_x
      - .offset:         70
        .size:           2
        .value_kind:     hidden_group_size_y
      - .offset:         72
        .size:           2
        .value_kind:     hidden_group_size_z
      - .offset:         74
        .size:           2
        .value_kind:     hidden_remainder_x
      - .offset:         76
        .size:           2
        .value_kind:     hidden_remainder_y
      - .offset:         78
        .size:           2
        .value_kind:     hidden_remainder_z
      - .offset:         96
        .size:           8
        .value_kind:     hidden_global_offset_x
      - .offset:         104
        .size:           8
        .value_kind:     hidden_global_offset_y
      - .offset:         112
        .size:           8
        .value_kind:     hidden_global_offset_z
      - .offset:         120
        .size:           2
        .value_kind:     hidden_grid_dims
    .group_segment_fixed_size: 0
    .kernarg_segment_align: 8
    .kernarg_segment_size: 312
    .language:       OpenCL C
    .language_version:
      - 2
      - 0
    .max_flat_workgroup_size: 128
    .name:           _ZN12_GLOBAL__N_141elementwise_kernel_with_index_grid_strideIiZZZN2at6native17linspace_cuda_outERKN3c106ScalarES6_lRNS1_6TensorEENKUlvE0_clEvENKUlvE2_clEvEUllE_EEvT_T0_PN15function_traitsISD_E11result_typeE
    .private_segment_fixed_size: 0
    .sgpr_count:     23
    .sgpr_spill_count: 0
    .symbol:         _ZN12_GLOBAL__N_141elementwise_kernel_with_index_grid_strideIiZZZN2at6native17linspace_cuda_outERKN3c106ScalarES6_lRNS1_6TensorEENKUlvE0_clEvENKUlvE2_clEvEUllE_EEvT_T0_PN15function_traitsISD_E11result_typeE.kd
    .uniform_work_group_size: 1
    .uses_dynamic_stack: false
    .vgpr_count:     9
    .vgpr_spill_count: 0
    .wavefront_size: 64
  - .args:
      - .offset:         0
        .size:           8
        .value_kind:     by_value
      - .offset:         8
        .size:           40
        .value_kind:     by_value
      - .address_space:  global
        .offset:         48
        .size:           8
        .value_kind:     global_buffer
      - .offset:         56
        .size:           4
        .value_kind:     hidden_block_count_x
      - .offset:         60
        .size:           4
        .value_kind:     hidden_block_count_y
      - .offset:         64
        .size:           4
        .value_kind:     hidden_block_count_z
      - .offset:         68
        .size:           2
        .value_kind:     hidden_group_size_x
      - .offset:         70
        .size:           2
        .value_kind:     hidden_group_size_y
      - .offset:         72
        .size:           2
        .value_kind:     hidden_group_size_z
      - .offset:         74
        .size:           2
        .value_kind:     hidden_remainder_x
      - .offset:         76
        .size:           2
        .value_kind:     hidden_remainder_y
      - .offset:         78
        .size:           2
        .value_kind:     hidden_remainder_z
      - .offset:         96
        .size:           8
        .value_kind:     hidden_global_offset_x
      - .offset:         104
        .size:           8
        .value_kind:     hidden_global_offset_y
      - .offset:         112
        .size:           8
        .value_kind:     hidden_global_offset_z
      - .offset:         120
        .size:           2
        .value_kind:     hidden_grid_dims
    .group_segment_fixed_size: 0
    .kernarg_segment_align: 8
    .kernarg_segment_size: 312
    .language:       OpenCL C
    .language_version:
      - 2
      - 0
    .max_flat_workgroup_size: 128
    .name:           _ZN12_GLOBAL__N_141elementwise_kernel_with_index_grid_strideIlZZZN2at6native17linspace_cuda_outERKN3c106ScalarES6_lRNS1_6TensorEENKUlvE0_clEvENKUlvE2_clEvEUllE_EEvT_T0_PN15function_traitsISD_E11result_typeE
    .private_segment_fixed_size: 0
    .sgpr_count:     24
    .sgpr_spill_count: 0
    .symbol:         _ZN12_GLOBAL__N_141elementwise_kernel_with_index_grid_strideIlZZZN2at6native17linspace_cuda_outERKN3c106ScalarES6_lRNS1_6TensorEENKUlvE0_clEvENKUlvE2_clEvEUllE_EEvT_T0_PN15function_traitsISD_E11result_typeE.kd
    .uniform_work_group_size: 1
    .uses_dynamic_stack: false
    .vgpr_count:     10
    .vgpr_spill_count: 0
    .wavefront_size: 64
  - .args:
      - .offset:         0
        .size:           4
        .value_kind:     by_value
      - .offset:         8
        .size:           32
        .value_kind:     by_value
      - .address_space:  global
        .offset:         40
        .size:           8
        .value_kind:     global_buffer
      - .offset:         48
        .size:           4
        .value_kind:     hidden_block_count_x
      - .offset:         52
        .size:           4
        .value_kind:     hidden_block_count_y
      - .offset:         56
        .size:           4
        .value_kind:     hidden_block_count_z
      - .offset:         60
        .size:           2
        .value_kind:     hidden_group_size_x
      - .offset:         62
        .size:           2
        .value_kind:     hidden_group_size_y
      - .offset:         64
        .size:           2
        .value_kind:     hidden_group_size_z
      - .offset:         66
        .size:           2
        .value_kind:     hidden_remainder_x
      - .offset:         68
        .size:           2
        .value_kind:     hidden_remainder_y
      - .offset:         70
        .size:           2
        .value_kind:     hidden_remainder_z
      - .offset:         88
        .size:           8
        .value_kind:     hidden_global_offset_x
      - .offset:         96
        .size:           8
        .value_kind:     hidden_global_offset_y
      - .offset:         104
        .size:           8
        .value_kind:     hidden_global_offset_z
      - .offset:         112
        .size:           2
        .value_kind:     hidden_grid_dims
    .group_segment_fixed_size: 0
    .kernarg_segment_align: 8
    .kernarg_segment_size: 304
    .language:       OpenCL C
    .language_version:
      - 2
      - 0
    .max_flat_workgroup_size: 128
    .name:           _ZN12_GLOBAL__N_141elementwise_kernel_with_index_grid_strideIiZZZN2at6native17linspace_cuda_outERKN3c106ScalarES6_lRNS1_6TensorEENKUlvE0_clEvENKUlvE3_clEvEUllE_EEvT_T0_PN15function_traitsISD_E11result_typeE
    .private_segment_fixed_size: 0
    .sgpr_count:     31
    .sgpr_spill_count: 0
    .symbol:         _ZN12_GLOBAL__N_141elementwise_kernel_with_index_grid_strideIiZZZN2at6native17linspace_cuda_outERKN3c106ScalarES6_lRNS1_6TensorEENKUlvE0_clEvENKUlvE3_clEvEUllE_EEvT_T0_PN15function_traitsISD_E11result_typeE.kd
    .uniform_work_group_size: 1
    .uses_dynamic_stack: false
    .vgpr_count:     21
    .vgpr_spill_count: 0
    .wavefront_size: 64
  - .args:
      - .offset:         0
        .size:           8
        .value_kind:     by_value
      - .offset:         8
        .size:           32
        .value_kind:     by_value
      - .address_space:  global
        .offset:         40
        .size:           8
        .value_kind:     global_buffer
      - .offset:         48
        .size:           4
        .value_kind:     hidden_block_count_x
      - .offset:         52
        .size:           4
        .value_kind:     hidden_block_count_y
      - .offset:         56
        .size:           4
        .value_kind:     hidden_block_count_z
      - .offset:         60
        .size:           2
        .value_kind:     hidden_group_size_x
      - .offset:         62
        .size:           2
        .value_kind:     hidden_group_size_y
      - .offset:         64
        .size:           2
        .value_kind:     hidden_group_size_z
      - .offset:         66
        .size:           2
        .value_kind:     hidden_remainder_x
      - .offset:         68
        .size:           2
        .value_kind:     hidden_remainder_y
      - .offset:         70
        .size:           2
        .value_kind:     hidden_remainder_z
      - .offset:         88
        .size:           8
        .value_kind:     hidden_global_offset_x
      - .offset:         96
        .size:           8
        .value_kind:     hidden_global_offset_y
      - .offset:         104
        .size:           8
        .value_kind:     hidden_global_offset_z
      - .offset:         112
        .size:           2
        .value_kind:     hidden_grid_dims
    .group_segment_fixed_size: 0
    .kernarg_segment_align: 8
    .kernarg_segment_size: 304
    .language:       OpenCL C
    .language_version:
      - 2
      - 0
    .max_flat_workgroup_size: 128
    .name:           _ZN12_GLOBAL__N_141elementwise_kernel_with_index_grid_strideIlZZZN2at6native17linspace_cuda_outERKN3c106ScalarES6_lRNS1_6TensorEENKUlvE0_clEvENKUlvE3_clEvEUllE_EEvT_T0_PN15function_traitsISD_E11result_typeE
    .private_segment_fixed_size: 0
    .sgpr_count:     36
    .sgpr_spill_count: 0
    .symbol:         _ZN12_GLOBAL__N_141elementwise_kernel_with_index_grid_strideIlZZZN2at6native17linspace_cuda_outERKN3c106ScalarES6_lRNS1_6TensorEENKUlvE0_clEvENKUlvE3_clEvEUllE_EEvT_T0_PN15function_traitsISD_E11result_typeE.kd
    .uniform_work_group_size: 1
    .uses_dynamic_stack: false
    .vgpr_count:     28
    .vgpr_spill_count: 0
    .wavefront_size: 64
  - .args:
      - .offset:         0
        .size:           4
        .value_kind:     by_value
      - .offset:         8
        .size:           32
        .value_kind:     by_value
      - .address_space:  global
        .offset:         40
        .size:           8
        .value_kind:     global_buffer
      - .offset:         48
        .size:           4
        .value_kind:     hidden_block_count_x
      - .offset:         52
        .size:           4
        .value_kind:     hidden_block_count_y
      - .offset:         56
        .size:           4
        .value_kind:     hidden_block_count_z
      - .offset:         60
        .size:           2
        .value_kind:     hidden_group_size_x
      - .offset:         62
        .size:           2
        .value_kind:     hidden_group_size_y
      - .offset:         64
        .size:           2
        .value_kind:     hidden_group_size_z
      - .offset:         66
        .size:           2
        .value_kind:     hidden_remainder_x
      - .offset:         68
        .size:           2
        .value_kind:     hidden_remainder_y
      - .offset:         70
        .size:           2
        .value_kind:     hidden_remainder_z
      - .offset:         88
        .size:           8
        .value_kind:     hidden_global_offset_x
      - .offset:         96
        .size:           8
        .value_kind:     hidden_global_offset_y
      - .offset:         104
        .size:           8
        .value_kind:     hidden_global_offset_z
      - .offset:         112
        .size:           2
        .value_kind:     hidden_grid_dims
    .group_segment_fixed_size: 0
    .kernarg_segment_align: 8
    .kernarg_segment_size: 304
    .language:       OpenCL C
    .language_version:
      - 2
      - 0
    .max_flat_workgroup_size: 128
    .name:           _ZN12_GLOBAL__N_141elementwise_kernel_with_index_grid_strideIiZZZN2at6native17linspace_cuda_outERKN3c106ScalarES6_lRNS1_6TensorEENKUlvE0_clEvENKUlvE4_clEvEUllE_EEvT_T0_PN15function_traitsISD_E11result_typeE
    .private_segment_fixed_size: 0
    .sgpr_count:     34
    .sgpr_spill_count: 0
    .symbol:         _ZN12_GLOBAL__N_141elementwise_kernel_with_index_grid_strideIiZZZN2at6native17linspace_cuda_outERKN3c106ScalarES6_lRNS1_6TensorEENKUlvE0_clEvENKUlvE4_clEvEUllE_EEvT_T0_PN15function_traitsISD_E11result_typeE.kd
    .uniform_work_group_size: 1
    .uses_dynamic_stack: false
    .vgpr_count:     22
    .vgpr_spill_count: 0
    .wavefront_size: 64
  - .args:
      - .offset:         0
        .size:           8
        .value_kind:     by_value
      - .offset:         8
        .size:           32
        .value_kind:     by_value
      - .address_space:  global
        .offset:         40
        .size:           8
        .value_kind:     global_buffer
      - .offset:         48
        .size:           4
        .value_kind:     hidden_block_count_x
      - .offset:         52
        .size:           4
        .value_kind:     hidden_block_count_y
      - .offset:         56
        .size:           4
        .value_kind:     hidden_block_count_z
      - .offset:         60
        .size:           2
        .value_kind:     hidden_group_size_x
      - .offset:         62
        .size:           2
        .value_kind:     hidden_group_size_y
      - .offset:         64
        .size:           2
        .value_kind:     hidden_group_size_z
      - .offset:         66
        .size:           2
        .value_kind:     hidden_remainder_x
      - .offset:         68
        .size:           2
        .value_kind:     hidden_remainder_y
      - .offset:         70
        .size:           2
        .value_kind:     hidden_remainder_z
      - .offset:         88
        .size:           8
        .value_kind:     hidden_global_offset_x
      - .offset:         96
        .size:           8
        .value_kind:     hidden_global_offset_y
      - .offset:         104
        .size:           8
        .value_kind:     hidden_global_offset_z
      - .offset:         112
        .size:           2
        .value_kind:     hidden_grid_dims
    .group_segment_fixed_size: 0
    .kernarg_segment_align: 8
    .kernarg_segment_size: 304
    .language:       OpenCL C
    .language_version:
      - 2
      - 0
    .max_flat_workgroup_size: 128
    .name:           _ZN12_GLOBAL__N_141elementwise_kernel_with_index_grid_strideIlZZZN2at6native17linspace_cuda_outERKN3c106ScalarES6_lRNS1_6TensorEENKUlvE0_clEvENKUlvE4_clEvEUllE_EEvT_T0_PN15function_traitsISD_E11result_typeE
    .private_segment_fixed_size: 0
    .sgpr_count:     40
    .sgpr_spill_count: 0
    .symbol:         _ZN12_GLOBAL__N_141elementwise_kernel_with_index_grid_strideIlZZZN2at6native17linspace_cuda_outERKN3c106ScalarES6_lRNS1_6TensorEENKUlvE0_clEvENKUlvE4_clEvEUllE_EEvT_T0_PN15function_traitsISD_E11result_typeE.kd
    .uniform_work_group_size: 1
    .uses_dynamic_stack: false
    .vgpr_count:     28
    .vgpr_spill_count: 0
    .wavefront_size: 64
  - .args:
      - .offset:         0
        .size:           4
        .value_kind:     by_value
      - .offset:         8
        .size:           32
        .value_kind:     by_value
      - .address_space:  global
        .offset:         40
        .size:           8
        .value_kind:     global_buffer
      - .offset:         48
        .size:           4
        .value_kind:     hidden_block_count_x
      - .offset:         52
        .size:           4
        .value_kind:     hidden_block_count_y
      - .offset:         56
        .size:           4
        .value_kind:     hidden_block_count_z
      - .offset:         60
        .size:           2
        .value_kind:     hidden_group_size_x
      - .offset:         62
        .size:           2
        .value_kind:     hidden_group_size_y
      - .offset:         64
        .size:           2
        .value_kind:     hidden_group_size_z
      - .offset:         66
        .size:           2
        .value_kind:     hidden_remainder_x
      - .offset:         68
        .size:           2
        .value_kind:     hidden_remainder_y
      - .offset:         70
        .size:           2
        .value_kind:     hidden_remainder_z
      - .offset:         88
        .size:           8
        .value_kind:     hidden_global_offset_x
      - .offset:         96
        .size:           8
        .value_kind:     hidden_global_offset_y
      - .offset:         104
        .size:           8
        .value_kind:     hidden_global_offset_z
      - .offset:         112
        .size:           2
        .value_kind:     hidden_grid_dims
    .group_segment_fixed_size: 0
    .kernarg_segment_align: 8
    .kernarg_segment_size: 304
    .language:       OpenCL C
    .language_version:
      - 2
      - 0
    .max_flat_workgroup_size: 128
    .name:           _ZN12_GLOBAL__N_141elementwise_kernel_with_index_grid_strideIiZZZN2at6native17logspace_cuda_outERKN3c106ScalarES6_ldRNS1_6TensorEENKUlvE_clEvENKUlvE_clEvEUllE_EEvT_T0_PN15function_traitsISD_E11result_typeE
    .private_segment_fixed_size: 0
    .sgpr_count:     29
    .sgpr_spill_count: 0
    .symbol:         _ZN12_GLOBAL__N_141elementwise_kernel_with_index_grid_strideIiZZZN2at6native17logspace_cuda_outERKN3c106ScalarES6_ldRNS1_6TensorEENKUlvE_clEvENKUlvE_clEvEUllE_EEvT_T0_PN15function_traitsISD_E11result_typeE.kd
    .uniform_work_group_size: 1
    .uses_dynamic_stack: false
    .vgpr_count:     23
    .vgpr_spill_count: 0
    .wavefront_size: 64
  - .args:
      - .offset:         0
        .size:           8
        .value_kind:     by_value
      - .offset:         8
        .size:           32
        .value_kind:     by_value
      - .address_space:  global
        .offset:         40
        .size:           8
        .value_kind:     global_buffer
      - .offset:         48
        .size:           4
        .value_kind:     hidden_block_count_x
      - .offset:         52
        .size:           4
        .value_kind:     hidden_block_count_y
      - .offset:         56
        .size:           4
        .value_kind:     hidden_block_count_z
      - .offset:         60
        .size:           2
        .value_kind:     hidden_group_size_x
      - .offset:         62
        .size:           2
        .value_kind:     hidden_group_size_y
      - .offset:         64
        .size:           2
        .value_kind:     hidden_group_size_z
      - .offset:         66
        .size:           2
        .value_kind:     hidden_remainder_x
      - .offset:         68
        .size:           2
        .value_kind:     hidden_remainder_y
      - .offset:         70
        .size:           2
        .value_kind:     hidden_remainder_z
      - .offset:         88
        .size:           8
        .value_kind:     hidden_global_offset_x
      - .offset:         96
        .size:           8
        .value_kind:     hidden_global_offset_y
      - .offset:         104
        .size:           8
        .value_kind:     hidden_global_offset_z
      - .offset:         112
        .size:           2
        .value_kind:     hidden_grid_dims
    .group_segment_fixed_size: 0
    .kernarg_segment_align: 8
    .kernarg_segment_size: 304
    .language:       OpenCL C
    .language_version:
      - 2
      - 0
    .max_flat_workgroup_size: 128
    .name:           _ZN12_GLOBAL__N_141elementwise_kernel_with_index_grid_strideIlZZZN2at6native17logspace_cuda_outERKN3c106ScalarES6_ldRNS1_6TensorEENKUlvE_clEvENKUlvE_clEvEUllE_EEvT_T0_PN15function_traitsISD_E11result_typeE
    .private_segment_fixed_size: 0
    .sgpr_count:     30
    .sgpr_spill_count: 0
    .symbol:         _ZN12_GLOBAL__N_141elementwise_kernel_with_index_grid_strideIlZZZN2at6native17logspace_cuda_outERKN3c106ScalarES6_ldRNS1_6TensorEENKUlvE_clEvENKUlvE_clEvEUllE_EEvT_T0_PN15function_traitsISD_E11result_typeE.kd
    .uniform_work_group_size: 1
    .uses_dynamic_stack: false
    .vgpr_count:     23
    .vgpr_spill_count: 0
    .wavefront_size: 64
  - .args:
      - .offset:         0
        .size:           4
        .value_kind:     by_value
      - .offset:         8
        .size:           32
        .value_kind:     by_value
      - .address_space:  global
        .offset:         40
        .size:           8
        .value_kind:     global_buffer
      - .offset:         48
        .size:           4
        .value_kind:     hidden_block_count_x
      - .offset:         52
        .size:           4
        .value_kind:     hidden_block_count_y
      - .offset:         56
        .size:           4
        .value_kind:     hidden_block_count_z
      - .offset:         60
        .size:           2
        .value_kind:     hidden_group_size_x
      - .offset:         62
        .size:           2
        .value_kind:     hidden_group_size_y
      - .offset:         64
        .size:           2
        .value_kind:     hidden_group_size_z
      - .offset:         66
        .size:           2
        .value_kind:     hidden_remainder_x
      - .offset:         68
        .size:           2
        .value_kind:     hidden_remainder_y
      - .offset:         70
        .size:           2
        .value_kind:     hidden_remainder_z
      - .offset:         88
        .size:           8
        .value_kind:     hidden_global_offset_x
      - .offset:         96
        .size:           8
        .value_kind:     hidden_global_offset_y
      - .offset:         104
        .size:           8
        .value_kind:     hidden_global_offset_z
      - .offset:         112
        .size:           2
        .value_kind:     hidden_grid_dims
    .group_segment_fixed_size: 0
    .kernarg_segment_align: 8
    .kernarg_segment_size: 304
    .language:       OpenCL C
    .language_version:
      - 2
      - 0
    .max_flat_workgroup_size: 128
    .name:           _ZN12_GLOBAL__N_141elementwise_kernel_with_index_grid_strideIiZZZN2at6native17logspace_cuda_outERKN3c106ScalarES6_ldRNS1_6TensorEENKUlvE_clEvENKUlvE0_clEvEUllE_EEvT_T0_PN15function_traitsISD_E11result_typeE
    .private_segment_fixed_size: 0
    .sgpr_count:     29
    .sgpr_spill_count: 0
    .symbol:         _ZN12_GLOBAL__N_141elementwise_kernel_with_index_grid_strideIiZZZN2at6native17logspace_cuda_outERKN3c106ScalarES6_ldRNS1_6TensorEENKUlvE_clEvENKUlvE0_clEvEUllE_EEvT_T0_PN15function_traitsISD_E11result_typeE.kd
    .uniform_work_group_size: 1
    .uses_dynamic_stack: false
    .vgpr_count:     23
    .vgpr_spill_count: 0
    .wavefront_size: 64
  - .args:
      - .offset:         0
        .size:           8
        .value_kind:     by_value
      - .offset:         8
        .size:           32
        .value_kind:     by_value
      - .address_space:  global
        .offset:         40
        .size:           8
        .value_kind:     global_buffer
      - .offset:         48
        .size:           4
        .value_kind:     hidden_block_count_x
      - .offset:         52
        .size:           4
        .value_kind:     hidden_block_count_y
      - .offset:         56
        .size:           4
        .value_kind:     hidden_block_count_z
      - .offset:         60
        .size:           2
        .value_kind:     hidden_group_size_x
      - .offset:         62
        .size:           2
        .value_kind:     hidden_group_size_y
      - .offset:         64
        .size:           2
        .value_kind:     hidden_group_size_z
      - .offset:         66
        .size:           2
        .value_kind:     hidden_remainder_x
      - .offset:         68
        .size:           2
        .value_kind:     hidden_remainder_y
      - .offset:         70
        .size:           2
        .value_kind:     hidden_remainder_z
      - .offset:         88
        .size:           8
        .value_kind:     hidden_global_offset_x
      - .offset:         96
        .size:           8
        .value_kind:     hidden_global_offset_y
      - .offset:         104
        .size:           8
        .value_kind:     hidden_global_offset_z
      - .offset:         112
        .size:           2
        .value_kind:     hidden_grid_dims
    .group_segment_fixed_size: 0
    .kernarg_segment_align: 8
    .kernarg_segment_size: 304
    .language:       OpenCL C
    .language_version:
      - 2
      - 0
    .max_flat_workgroup_size: 128
    .name:           _ZN12_GLOBAL__N_141elementwise_kernel_with_index_grid_strideIlZZZN2at6native17logspace_cuda_outERKN3c106ScalarES6_ldRNS1_6TensorEENKUlvE_clEvENKUlvE0_clEvEUllE_EEvT_T0_PN15function_traitsISD_E11result_typeE
    .private_segment_fixed_size: 0
    .sgpr_count:     30
    .sgpr_spill_count: 0
    .symbol:         _ZN12_GLOBAL__N_141elementwise_kernel_with_index_grid_strideIlZZZN2at6native17logspace_cuda_outERKN3c106ScalarES6_ldRNS1_6TensorEENKUlvE_clEvENKUlvE0_clEvEUllE_EEvT_T0_PN15function_traitsISD_E11result_typeE.kd
    .uniform_work_group_size: 1
    .uses_dynamic_stack: false
    .vgpr_count:     23
    .vgpr_spill_count: 0
    .wavefront_size: 64
  - .args:
      - .offset:         0
        .size:           4
        .value_kind:     by_value
      - .offset:         8
        .size:           40
        .value_kind:     by_value
      - .address_space:  global
        .offset:         48
        .size:           8
        .value_kind:     global_buffer
      - .offset:         56
        .size:           4
        .value_kind:     hidden_block_count_x
      - .offset:         60
        .size:           4
        .value_kind:     hidden_block_count_y
      - .offset:         64
        .size:           4
        .value_kind:     hidden_block_count_z
      - .offset:         68
        .size:           2
        .value_kind:     hidden_group_size_x
      - .offset:         70
        .size:           2
        .value_kind:     hidden_group_size_y
      - .offset:         72
        .size:           2
        .value_kind:     hidden_group_size_z
      - .offset:         74
        .size:           2
        .value_kind:     hidden_remainder_x
      - .offset:         76
        .size:           2
        .value_kind:     hidden_remainder_y
      - .offset:         78
        .size:           2
        .value_kind:     hidden_remainder_z
      - .offset:         96
        .size:           8
        .value_kind:     hidden_global_offset_x
      - .offset:         104
        .size:           8
        .value_kind:     hidden_global_offset_y
      - .offset:         112
        .size:           8
        .value_kind:     hidden_global_offset_z
      - .offset:         120
        .size:           2
        .value_kind:     hidden_grid_dims
    .group_segment_fixed_size: 0
    .kernarg_segment_align: 8
    .kernarg_segment_size: 312
    .language:       OpenCL C
    .language_version:
      - 2
      - 0
    .max_flat_workgroup_size: 128
    .name:           _ZN12_GLOBAL__N_141elementwise_kernel_with_index_grid_strideIiZZZN2at6native17logspace_cuda_outERKN3c106ScalarES6_ldRNS1_6TensorEENKUlvE_clEvENKUlvE1_clEvEUllE_EEvT_T0_PN15function_traitsISD_E11result_typeE
    .private_segment_fixed_size: 0
    .sgpr_count:     30
    .sgpr_spill_count: 0
    .symbol:         _ZN12_GLOBAL__N_141elementwise_kernel_with_index_grid_strideIiZZZN2at6native17logspace_cuda_outERKN3c106ScalarES6_ldRNS1_6TensorEENKUlvE_clEvENKUlvE1_clEvEUllE_EEvT_T0_PN15function_traitsISD_E11result_typeE.kd
    .uniform_work_group_size: 1
    .uses_dynamic_stack: false
    .vgpr_count:     23
    .vgpr_spill_count: 0
    .wavefront_size: 64
  - .args:
      - .offset:         0
        .size:           8
        .value_kind:     by_value
      - .offset:         8
        .size:           40
        .value_kind:     by_value
      - .address_space:  global
        .offset:         48
        .size:           8
        .value_kind:     global_buffer
      - .offset:         56
        .size:           4
        .value_kind:     hidden_block_count_x
      - .offset:         60
        .size:           4
        .value_kind:     hidden_block_count_y
      - .offset:         64
        .size:           4
        .value_kind:     hidden_block_count_z
      - .offset:         68
        .size:           2
        .value_kind:     hidden_group_size_x
      - .offset:         70
        .size:           2
        .value_kind:     hidden_group_size_y
      - .offset:         72
        .size:           2
        .value_kind:     hidden_group_size_z
      - .offset:         74
        .size:           2
        .value_kind:     hidden_remainder_x
      - .offset:         76
        .size:           2
        .value_kind:     hidden_remainder_y
      - .offset:         78
        .size:           2
        .value_kind:     hidden_remainder_z
      - .offset:         96
        .size:           8
        .value_kind:     hidden_global_offset_x
      - .offset:         104
        .size:           8
        .value_kind:     hidden_global_offset_y
      - .offset:         112
        .size:           8
        .value_kind:     hidden_global_offset_z
      - .offset:         120
        .size:           2
        .value_kind:     hidden_grid_dims
    .group_segment_fixed_size: 0
    .kernarg_segment_align: 8
    .kernarg_segment_size: 312
    .language:       OpenCL C
    .language_version:
      - 2
      - 0
    .max_flat_workgroup_size: 128
    .name:           _ZN12_GLOBAL__N_141elementwise_kernel_with_index_grid_strideIlZZZN2at6native17logspace_cuda_outERKN3c106ScalarES6_ldRNS1_6TensorEENKUlvE_clEvENKUlvE1_clEvEUllE_EEvT_T0_PN15function_traitsISD_E11result_typeE
    .private_segment_fixed_size: 0
    .sgpr_count:     31
    .sgpr_spill_count: 0
    .symbol:         _ZN12_GLOBAL__N_141elementwise_kernel_with_index_grid_strideIlZZZN2at6native17logspace_cuda_outERKN3c106ScalarES6_ldRNS1_6TensorEENKUlvE_clEvENKUlvE1_clEvEUllE_EEvT_T0_PN15function_traitsISD_E11result_typeE.kd
    .uniform_work_group_size: 1
    .uses_dynamic_stack: false
    .vgpr_count:     23
    .vgpr_spill_count: 0
    .wavefront_size: 64
  - .args:
      - .offset:         0
        .size:           4
        .value_kind:     by_value
      - .offset:         8
        .size:           48
        .value_kind:     by_value
      - .address_space:  global
        .offset:         56
        .size:           8
        .value_kind:     global_buffer
      - .offset:         64
        .size:           4
        .value_kind:     hidden_block_count_x
      - .offset:         68
        .size:           4
        .value_kind:     hidden_block_count_y
      - .offset:         72
        .size:           4
        .value_kind:     hidden_block_count_z
      - .offset:         76
        .size:           2
        .value_kind:     hidden_group_size_x
      - .offset:         78
        .size:           2
        .value_kind:     hidden_group_size_y
      - .offset:         80
        .size:           2
        .value_kind:     hidden_group_size_z
      - .offset:         82
        .size:           2
        .value_kind:     hidden_remainder_x
      - .offset:         84
        .size:           2
        .value_kind:     hidden_remainder_y
      - .offset:         86
        .size:           2
        .value_kind:     hidden_remainder_z
      - .offset:         104
        .size:           8
        .value_kind:     hidden_global_offset_x
      - .offset:         112
        .size:           8
        .value_kind:     hidden_global_offset_y
      - .offset:         120
        .size:           8
        .value_kind:     hidden_global_offset_z
      - .offset:         128
        .size:           2
        .value_kind:     hidden_grid_dims
    .group_segment_fixed_size: 0
    .kernarg_segment_align: 8
    .kernarg_segment_size: 320
    .language:       OpenCL C
    .language_version:
      - 2
      - 0
    .max_flat_workgroup_size: 128
    .name:           _ZN12_GLOBAL__N_141elementwise_kernel_with_index_grid_strideIiZZZN2at6native17logspace_cuda_outERKN3c106ScalarES6_ldRNS1_6TensorEENKUlvE_clEvENKUlvE2_clEvEUllE_EEvT_T0_PN15function_traitsISD_E11result_typeE
    .private_segment_fixed_size: 0
    .sgpr_count:     32
    .sgpr_spill_count: 0
    .symbol:         _ZN12_GLOBAL__N_141elementwise_kernel_with_index_grid_strideIiZZZN2at6native17logspace_cuda_outERKN3c106ScalarES6_ldRNS1_6TensorEENKUlvE_clEvENKUlvE2_clEvEUllE_EEvT_T0_PN15function_traitsISD_E11result_typeE.kd
    .uniform_work_group_size: 1
    .uses_dynamic_stack: false
    .vgpr_count:     23
    .vgpr_spill_count: 0
    .wavefront_size: 64
  - .args:
      - .offset:         0
        .size:           8
        .value_kind:     by_value
      - .offset:         8
        .size:           48
        .value_kind:     by_value
      - .address_space:  global
        .offset:         56
        .size:           8
        .value_kind:     global_buffer
      - .offset:         64
        .size:           4
        .value_kind:     hidden_block_count_x
      - .offset:         68
        .size:           4
        .value_kind:     hidden_block_count_y
      - .offset:         72
        .size:           4
        .value_kind:     hidden_block_count_z
      - .offset:         76
        .size:           2
        .value_kind:     hidden_group_size_x
      - .offset:         78
        .size:           2
        .value_kind:     hidden_group_size_y
      - .offset:         80
        .size:           2
        .value_kind:     hidden_group_size_z
      - .offset:         82
        .size:           2
        .value_kind:     hidden_remainder_x
      - .offset:         84
        .size:           2
        .value_kind:     hidden_remainder_y
      - .offset:         86
        .size:           2
        .value_kind:     hidden_remainder_z
      - .offset:         104
        .size:           8
        .value_kind:     hidden_global_offset_x
      - .offset:         112
        .size:           8
        .value_kind:     hidden_global_offset_y
      - .offset:         120
        .size:           8
        .value_kind:     hidden_global_offset_z
      - .offset:         128
        .size:           2
        .value_kind:     hidden_grid_dims
    .group_segment_fixed_size: 0
    .kernarg_segment_align: 8
    .kernarg_segment_size: 320
    .language:       OpenCL C
    .language_version:
      - 2
      - 0
    .max_flat_workgroup_size: 128
    .name:           _ZN12_GLOBAL__N_141elementwise_kernel_with_index_grid_strideIlZZZN2at6native17logspace_cuda_outERKN3c106ScalarES6_ldRNS1_6TensorEENKUlvE_clEvENKUlvE2_clEvEUllE_EEvT_T0_PN15function_traitsISD_E11result_typeE
    .private_segment_fixed_size: 0
    .sgpr_count:     33
    .sgpr_spill_count: 0
    .symbol:         _ZN12_GLOBAL__N_141elementwise_kernel_with_index_grid_strideIlZZZN2at6native17logspace_cuda_outERKN3c106ScalarES6_ldRNS1_6TensorEENKUlvE_clEvENKUlvE2_clEvEUllE_EEvT_T0_PN15function_traitsISD_E11result_typeE.kd
    .uniform_work_group_size: 1
    .uses_dynamic_stack: false
    .vgpr_count:     23
    .vgpr_spill_count: 0
    .wavefront_size: 64
  - .args:
      - .offset:         0
        .size:           4
        .value_kind:     by_value
      - .offset:         8
        .size:           32
        .value_kind:     by_value
      - .address_space:  global
        .offset:         40
        .size:           8
        .value_kind:     global_buffer
      - .offset:         48
        .size:           4
        .value_kind:     hidden_block_count_x
      - .offset:         52
        .size:           4
        .value_kind:     hidden_block_count_y
      - .offset:         56
        .size:           4
        .value_kind:     hidden_block_count_z
      - .offset:         60
        .size:           2
        .value_kind:     hidden_group_size_x
      - .offset:         62
        .size:           2
        .value_kind:     hidden_group_size_y
      - .offset:         64
        .size:           2
        .value_kind:     hidden_group_size_z
      - .offset:         66
        .size:           2
        .value_kind:     hidden_remainder_x
      - .offset:         68
        .size:           2
        .value_kind:     hidden_remainder_y
      - .offset:         70
        .size:           2
        .value_kind:     hidden_remainder_z
      - .offset:         88
        .size:           8
        .value_kind:     hidden_global_offset_x
      - .offset:         96
        .size:           8
        .value_kind:     hidden_global_offset_y
      - .offset:         104
        .size:           8
        .value_kind:     hidden_global_offset_z
      - .offset:         112
        .size:           2
        .value_kind:     hidden_grid_dims
    .group_segment_fixed_size: 0
    .kernarg_segment_align: 8
    .kernarg_segment_size: 304
    .language:       OpenCL C
    .language_version:
      - 2
      - 0
    .max_flat_workgroup_size: 128
    .name:           _ZN12_GLOBAL__N_141elementwise_kernel_with_index_grid_strideIiZZZN2at6native17logspace_cuda_outERKN3c106ScalarES6_ldRNS1_6TensorEENKUlvE_clEvENKUlvE3_clEvEUllE_EEvT_T0_PN15function_traitsISD_E11result_typeE
    .private_segment_fixed_size: 0
    .sgpr_count:     30
    .sgpr_spill_count: 0
    .symbol:         _ZN12_GLOBAL__N_141elementwise_kernel_with_index_grid_strideIiZZZN2at6native17logspace_cuda_outERKN3c106ScalarES6_ldRNS1_6TensorEENKUlvE_clEvENKUlvE3_clEvEUllE_EEvT_T0_PN15function_traitsISD_E11result_typeE.kd
    .uniform_work_group_size: 1
    .uses_dynamic_stack: false
    .vgpr_count:     23
    .vgpr_spill_count: 0
    .wavefront_size: 64
  - .args:
      - .offset:         0
        .size:           8
        .value_kind:     by_value
      - .offset:         8
        .size:           32
        .value_kind:     by_value
      - .address_space:  global
        .offset:         40
        .size:           8
        .value_kind:     global_buffer
      - .offset:         48
        .size:           4
        .value_kind:     hidden_block_count_x
      - .offset:         52
        .size:           4
        .value_kind:     hidden_block_count_y
      - .offset:         56
        .size:           4
        .value_kind:     hidden_block_count_z
      - .offset:         60
        .size:           2
        .value_kind:     hidden_group_size_x
      - .offset:         62
        .size:           2
        .value_kind:     hidden_group_size_y
      - .offset:         64
        .size:           2
        .value_kind:     hidden_group_size_z
      - .offset:         66
        .size:           2
        .value_kind:     hidden_remainder_x
      - .offset:         68
        .size:           2
        .value_kind:     hidden_remainder_y
      - .offset:         70
        .size:           2
        .value_kind:     hidden_remainder_z
      - .offset:         88
        .size:           8
        .value_kind:     hidden_global_offset_x
      - .offset:         96
        .size:           8
        .value_kind:     hidden_global_offset_y
      - .offset:         104
        .size:           8
        .value_kind:     hidden_global_offset_z
      - .offset:         112
        .size:           2
        .value_kind:     hidden_grid_dims
    .group_segment_fixed_size: 0
    .kernarg_segment_align: 8
    .kernarg_segment_size: 304
    .language:       OpenCL C
    .language_version:
      - 2
      - 0
    .max_flat_workgroup_size: 128
    .name:           _ZN12_GLOBAL__N_141elementwise_kernel_with_index_grid_strideIlZZZN2at6native17logspace_cuda_outERKN3c106ScalarES6_ldRNS1_6TensorEENKUlvE_clEvENKUlvE3_clEvEUllE_EEvT_T0_PN15function_traitsISD_E11result_typeE
    .private_segment_fixed_size: 0
    .sgpr_count:     31
    .sgpr_spill_count: 0
    .symbol:         _ZN12_GLOBAL__N_141elementwise_kernel_with_index_grid_strideIlZZZN2at6native17logspace_cuda_outERKN3c106ScalarES6_ldRNS1_6TensorEENKUlvE_clEvENKUlvE3_clEvEUllE_EEvT_T0_PN15function_traitsISD_E11result_typeE.kd
    .uniform_work_group_size: 1
    .uses_dynamic_stack: false
    .vgpr_count:     23
    .vgpr_spill_count: 0
    .wavefront_size: 64
  - .args:
      - .offset:         0
        .size:           4
        .value_kind:     by_value
      - .offset:         8
        .size:           48
        .value_kind:     by_value
      - .address_space:  global
        .offset:         56
        .size:           8
        .value_kind:     global_buffer
      - .offset:         64
        .size:           4
        .value_kind:     hidden_block_count_x
      - .offset:         68
        .size:           4
        .value_kind:     hidden_block_count_y
      - .offset:         72
        .size:           4
        .value_kind:     hidden_block_count_z
      - .offset:         76
        .size:           2
        .value_kind:     hidden_group_size_x
      - .offset:         78
        .size:           2
        .value_kind:     hidden_group_size_y
      - .offset:         80
        .size:           2
        .value_kind:     hidden_group_size_z
      - .offset:         82
        .size:           2
        .value_kind:     hidden_remainder_x
      - .offset:         84
        .size:           2
        .value_kind:     hidden_remainder_y
      - .offset:         86
        .size:           2
        .value_kind:     hidden_remainder_z
      - .offset:         104
        .size:           8
        .value_kind:     hidden_global_offset_x
      - .offset:         112
        .size:           8
        .value_kind:     hidden_global_offset_y
      - .offset:         120
        .size:           8
        .value_kind:     hidden_global_offset_z
      - .offset:         128
        .size:           2
        .value_kind:     hidden_grid_dims
    .group_segment_fixed_size: 0
    .kernarg_segment_align: 8
    .kernarg_segment_size: 320
    .language:       OpenCL C
    .language_version:
      - 2
      - 0
    .max_flat_workgroup_size: 128
    .name:           _ZN12_GLOBAL__N_141elementwise_kernel_with_index_grid_strideIiZZZN2at6native17logspace_cuda_outERKN3c106ScalarES6_ldRNS1_6TensorEENKUlvE0_clEvENKUlvE_clEvEUllE_EEvT_T0_PN15function_traitsISD_E11result_typeE
    .private_segment_fixed_size: 0
    .sgpr_count:     94
    .sgpr_spill_count: 0
    .symbol:         _ZN12_GLOBAL__N_141elementwise_kernel_with_index_grid_strideIiZZZN2at6native17logspace_cuda_outERKN3c106ScalarES6_ldRNS1_6TensorEENKUlvE0_clEvENKUlvE_clEvEUllE_EEvT_T0_PN15function_traitsISD_E11result_typeE.kd
    .uniform_work_group_size: 1
    .uses_dynamic_stack: false
    .vgpr_count:     35
    .vgpr_spill_count: 0
    .wavefront_size: 64
  - .args:
      - .offset:         0
        .size:           8
        .value_kind:     by_value
      - .offset:         8
        .size:           48
        .value_kind:     by_value
      - .address_space:  global
        .offset:         56
        .size:           8
        .value_kind:     global_buffer
      - .offset:         64
        .size:           4
        .value_kind:     hidden_block_count_x
      - .offset:         68
        .size:           4
        .value_kind:     hidden_block_count_y
      - .offset:         72
        .size:           4
        .value_kind:     hidden_block_count_z
      - .offset:         76
        .size:           2
        .value_kind:     hidden_group_size_x
      - .offset:         78
        .size:           2
        .value_kind:     hidden_group_size_y
      - .offset:         80
        .size:           2
        .value_kind:     hidden_group_size_z
      - .offset:         82
        .size:           2
        .value_kind:     hidden_remainder_x
      - .offset:         84
        .size:           2
        .value_kind:     hidden_remainder_y
      - .offset:         86
        .size:           2
        .value_kind:     hidden_remainder_z
      - .offset:         104
        .size:           8
        .value_kind:     hidden_global_offset_x
      - .offset:         112
        .size:           8
        .value_kind:     hidden_global_offset_y
      - .offset:         120
        .size:           8
        .value_kind:     hidden_global_offset_z
      - .offset:         128
        .size:           2
        .value_kind:     hidden_grid_dims
    .group_segment_fixed_size: 0
    .kernarg_segment_align: 8
    .kernarg_segment_size: 320
    .language:       OpenCL C
    .language_version:
      - 2
      - 0
    .max_flat_workgroup_size: 128
    .name:           _ZN12_GLOBAL__N_141elementwise_kernel_with_index_grid_strideIlZZZN2at6native17logspace_cuda_outERKN3c106ScalarES6_ldRNS1_6TensorEENKUlvE0_clEvENKUlvE_clEvEUllE_EEvT_T0_PN15function_traitsISD_E11result_typeE
    .private_segment_fixed_size: 0
    .sgpr_count:     87
    .sgpr_spill_count: 0
    .symbol:         _ZN12_GLOBAL__N_141elementwise_kernel_with_index_grid_strideIlZZZN2at6native17logspace_cuda_outERKN3c106ScalarES6_ldRNS1_6TensorEENKUlvE0_clEvENKUlvE_clEvEUllE_EEvT_T0_PN15function_traitsISD_E11result_typeE.kd
    .uniform_work_group_size: 1
    .uses_dynamic_stack: false
    .vgpr_count:     39
    .vgpr_spill_count: 0
    .wavefront_size: 64
  - .args:
      - .offset:         0
        .size:           4
        .value_kind:     by_value
      - .offset:         8
        .size:           40
        .value_kind:     by_value
      - .address_space:  global
        .offset:         48
        .size:           8
        .value_kind:     global_buffer
      - .offset:         56
        .size:           4
        .value_kind:     hidden_block_count_x
      - .offset:         60
        .size:           4
        .value_kind:     hidden_block_count_y
      - .offset:         64
        .size:           4
        .value_kind:     hidden_block_count_z
      - .offset:         68
        .size:           2
        .value_kind:     hidden_group_size_x
      - .offset:         70
        .size:           2
        .value_kind:     hidden_group_size_y
      - .offset:         72
        .size:           2
        .value_kind:     hidden_group_size_z
      - .offset:         74
        .size:           2
        .value_kind:     hidden_remainder_x
      - .offset:         76
        .size:           2
        .value_kind:     hidden_remainder_y
      - .offset:         78
        .size:           2
        .value_kind:     hidden_remainder_z
      - .offset:         96
        .size:           8
        .value_kind:     hidden_global_offset_x
      - .offset:         104
        .size:           8
        .value_kind:     hidden_global_offset_y
      - .offset:         112
        .size:           8
        .value_kind:     hidden_global_offset_z
      - .offset:         120
        .size:           2
        .value_kind:     hidden_grid_dims
    .group_segment_fixed_size: 0
    .kernarg_segment_align: 8
    .kernarg_segment_size: 312
    .language:       OpenCL C
    .language_version:
      - 2
      - 0
    .max_flat_workgroup_size: 128
    .name:           _ZN12_GLOBAL__N_141elementwise_kernel_with_index_grid_strideIiZZZN2at6native17logspace_cuda_outERKN3c106ScalarES6_ldRNS1_6TensorEENKUlvE0_clEvENKUlvE0_clEvEUllE_EEvT_T0_PN15function_traitsISD_E11result_typeE
    .private_segment_fixed_size: 0
    .sgpr_count:     32
    .sgpr_spill_count: 0
    .symbol:         _ZN12_GLOBAL__N_141elementwise_kernel_with_index_grid_strideIiZZZN2at6native17logspace_cuda_outERKN3c106ScalarES6_ldRNS1_6TensorEENKUlvE0_clEvENKUlvE0_clEvEUllE_EEvT_T0_PN15function_traitsISD_E11result_typeE.kd
    .uniform_work_group_size: 1
    .uses_dynamic_stack: false
    .vgpr_count:     23
    .vgpr_spill_count: 0
    .wavefront_size: 64
  - .args:
      - .offset:         0
        .size:           8
        .value_kind:     by_value
      - .offset:         8
        .size:           40
        .value_kind:     by_value
      - .address_space:  global
        .offset:         48
        .size:           8
        .value_kind:     global_buffer
      - .offset:         56
        .size:           4
        .value_kind:     hidden_block_count_x
      - .offset:         60
        .size:           4
        .value_kind:     hidden_block_count_y
      - .offset:         64
        .size:           4
        .value_kind:     hidden_block_count_z
      - .offset:         68
        .size:           2
        .value_kind:     hidden_group_size_x
      - .offset:         70
        .size:           2
        .value_kind:     hidden_group_size_y
      - .offset:         72
        .size:           2
        .value_kind:     hidden_group_size_z
      - .offset:         74
        .size:           2
        .value_kind:     hidden_remainder_x
      - .offset:         76
        .size:           2
        .value_kind:     hidden_remainder_y
      - .offset:         78
        .size:           2
        .value_kind:     hidden_remainder_z
      - .offset:         96
        .size:           8
        .value_kind:     hidden_global_offset_x
      - .offset:         104
        .size:           8
        .value_kind:     hidden_global_offset_y
      - .offset:         112
        .size:           8
        .value_kind:     hidden_global_offset_z
      - .offset:         120
        .size:           2
        .value_kind:     hidden_grid_dims
    .group_segment_fixed_size: 0
    .kernarg_segment_align: 8
    .kernarg_segment_size: 312
    .language:       OpenCL C
    .language_version:
      - 2
      - 0
    .max_flat_workgroup_size: 128
    .name:           _ZN12_GLOBAL__N_141elementwise_kernel_with_index_grid_strideIlZZZN2at6native17logspace_cuda_outERKN3c106ScalarES6_ldRNS1_6TensorEENKUlvE0_clEvENKUlvE0_clEvEUllE_EEvT_T0_PN15function_traitsISD_E11result_typeE
    .private_segment_fixed_size: 0
    .sgpr_count:     34
    .sgpr_spill_count: 0
    .symbol:         _ZN12_GLOBAL__N_141elementwise_kernel_with_index_grid_strideIlZZZN2at6native17logspace_cuda_outERKN3c106ScalarES6_ldRNS1_6TensorEENKUlvE0_clEvENKUlvE0_clEvEUllE_EEvT_T0_PN15function_traitsISD_E11result_typeE.kd
    .uniform_work_group_size: 1
    .uses_dynamic_stack: false
    .vgpr_count:     23
    .vgpr_spill_count: 0
    .wavefront_size: 64
  - .args:
      - .offset:         0
        .size:           4
        .value_kind:     by_value
      - .offset:         16
        .size:           96
        .value_kind:     by_value
      - .address_space:  global
        .offset:         112
        .size:           8
        .value_kind:     global_buffer
      - .offset:         120
        .size:           4
        .value_kind:     hidden_block_count_x
      - .offset:         124
        .size:           4
        .value_kind:     hidden_block_count_y
      - .offset:         128
        .size:           4
        .value_kind:     hidden_block_count_z
      - .offset:         132
        .size:           2
        .value_kind:     hidden_group_size_x
      - .offset:         134
        .size:           2
        .value_kind:     hidden_group_size_y
      - .offset:         136
        .size:           2
        .value_kind:     hidden_group_size_z
      - .offset:         138
        .size:           2
        .value_kind:     hidden_remainder_x
      - .offset:         140
        .size:           2
        .value_kind:     hidden_remainder_y
      - .offset:         142
        .size:           2
        .value_kind:     hidden_remainder_z
      - .offset:         160
        .size:           8
        .value_kind:     hidden_global_offset_x
      - .offset:         168
        .size:           8
        .value_kind:     hidden_global_offset_y
      - .offset:         176
        .size:           8
        .value_kind:     hidden_global_offset_z
      - .offset:         184
        .size:           2
        .value_kind:     hidden_grid_dims
    .group_segment_fixed_size: 0
    .kernarg_segment_align: 16
    .kernarg_segment_size: 376
    .language:       OpenCL C
    .language_version:
      - 2
      - 0
    .max_flat_workgroup_size: 128
    .name:           _ZN12_GLOBAL__N_141elementwise_kernel_with_index_grid_strideIiZZZN2at6native17logspace_cuda_outERKN3c106ScalarES6_ldRNS1_6TensorEENKUlvE0_clEvENKUlvE1_clEvEUllE_EEvT_T0_PN15function_traitsISD_E11result_typeE
    .private_segment_fixed_size: 0
    .sgpr_count:     68
    .sgpr_spill_count: 0
    .symbol:         _ZN12_GLOBAL__N_141elementwise_kernel_with_index_grid_strideIiZZZN2at6native17logspace_cuda_outERKN3c106ScalarES6_ldRNS1_6TensorEENKUlvE0_clEvENKUlvE1_clEvEUllE_EEvT_T0_PN15function_traitsISD_E11result_typeE.kd
    .uniform_work_group_size: 1
    .uses_dynamic_stack: false
    .vgpr_count:     44
    .vgpr_spill_count: 0
    .wavefront_size: 64
  - .args:
      - .offset:         0
        .size:           8
        .value_kind:     by_value
      - .offset:         16
        .size:           96
        .value_kind:     by_value
      - .address_space:  global
        .offset:         112
        .size:           8
        .value_kind:     global_buffer
      - .offset:         120
        .size:           4
        .value_kind:     hidden_block_count_x
      - .offset:         124
        .size:           4
        .value_kind:     hidden_block_count_y
      - .offset:         128
        .size:           4
        .value_kind:     hidden_block_count_z
      - .offset:         132
        .size:           2
        .value_kind:     hidden_group_size_x
      - .offset:         134
        .size:           2
        .value_kind:     hidden_group_size_y
      - .offset:         136
        .size:           2
        .value_kind:     hidden_group_size_z
      - .offset:         138
        .size:           2
        .value_kind:     hidden_remainder_x
      - .offset:         140
        .size:           2
        .value_kind:     hidden_remainder_y
      - .offset:         142
        .size:           2
        .value_kind:     hidden_remainder_z
      - .offset:         160
        .size:           8
        .value_kind:     hidden_global_offset_x
      - .offset:         168
        .size:           8
        .value_kind:     hidden_global_offset_y
      - .offset:         176
        .size:           8
        .value_kind:     hidden_global_offset_z
      - .offset:         184
        .size:           2
        .value_kind:     hidden_grid_dims
    .group_segment_fixed_size: 0
    .kernarg_segment_align: 16
    .kernarg_segment_size: 376
    .language:       OpenCL C
    .language_version:
      - 2
      - 0
    .max_flat_workgroup_size: 128
    .name:           _ZN12_GLOBAL__N_141elementwise_kernel_with_index_grid_strideIlZZZN2at6native17logspace_cuda_outERKN3c106ScalarES6_ldRNS1_6TensorEENKUlvE0_clEvENKUlvE1_clEvEUllE_EEvT_T0_PN15function_traitsISD_E11result_typeE
    .private_segment_fixed_size: 0
    .sgpr_count:     70
    .sgpr_spill_count: 0
    .symbol:         _ZN12_GLOBAL__N_141elementwise_kernel_with_index_grid_strideIlZZZN2at6native17logspace_cuda_outERKN3c106ScalarES6_ldRNS1_6TensorEENKUlvE0_clEvENKUlvE1_clEvEUllE_EEvT_T0_PN15function_traitsISD_E11result_typeE.kd
    .uniform_work_group_size: 1
    .uses_dynamic_stack: false
    .vgpr_count:     44
    .vgpr_spill_count: 0
    .wavefront_size: 64
  - .args:
      - .offset:         0
        .size:           4
        .value_kind:     by_value
      - .offset:         8
        .size:           48
        .value_kind:     by_value
      - .address_space:  global
        .offset:         56
        .size:           8
        .value_kind:     global_buffer
      - .offset:         64
        .size:           4
        .value_kind:     hidden_block_count_x
      - .offset:         68
        .size:           4
        .value_kind:     hidden_block_count_y
      - .offset:         72
        .size:           4
        .value_kind:     hidden_block_count_z
      - .offset:         76
        .size:           2
        .value_kind:     hidden_group_size_x
      - .offset:         78
        .size:           2
        .value_kind:     hidden_group_size_y
      - .offset:         80
        .size:           2
        .value_kind:     hidden_group_size_z
      - .offset:         82
        .size:           2
        .value_kind:     hidden_remainder_x
      - .offset:         84
        .size:           2
        .value_kind:     hidden_remainder_y
      - .offset:         86
        .size:           2
        .value_kind:     hidden_remainder_z
      - .offset:         104
        .size:           8
        .value_kind:     hidden_global_offset_x
      - .offset:         112
        .size:           8
        .value_kind:     hidden_global_offset_y
      - .offset:         120
        .size:           8
        .value_kind:     hidden_global_offset_z
      - .offset:         128
        .size:           2
        .value_kind:     hidden_grid_dims
    .group_segment_fixed_size: 0
    .kernarg_segment_align: 8
    .kernarg_segment_size: 320
    .language:       OpenCL C
    .language_version:
      - 2
      - 0
    .max_flat_workgroup_size: 128
    .name:           _ZN12_GLOBAL__N_141elementwise_kernel_with_index_grid_strideIiZZZN2at6native17logspace_cuda_outERKN3c106ScalarES6_ldRNS1_6TensorEENKUlvE0_clEvENKUlvE2_clEvEUllE_EEvT_T0_PN15function_traitsISD_E11result_typeE
    .private_segment_fixed_size: 0
    .sgpr_count:     52
    .sgpr_spill_count: 0
    .symbol:         _ZN12_GLOBAL__N_141elementwise_kernel_with_index_grid_strideIiZZZN2at6native17logspace_cuda_outERKN3c106ScalarES6_ldRNS1_6TensorEENKUlvE0_clEvENKUlvE2_clEvEUllE_EEvT_T0_PN15function_traitsISD_E11result_typeE.kd
    .uniform_work_group_size: 1
    .uses_dynamic_stack: false
    .vgpr_count:     25
    .vgpr_spill_count: 0
    .wavefront_size: 64
  - .args:
      - .offset:         0
        .size:           8
        .value_kind:     by_value
      - .offset:         8
        .size:           48
        .value_kind:     by_value
      - .address_space:  global
        .offset:         56
        .size:           8
        .value_kind:     global_buffer
      - .offset:         64
        .size:           4
        .value_kind:     hidden_block_count_x
      - .offset:         68
        .size:           4
        .value_kind:     hidden_block_count_y
      - .offset:         72
        .size:           4
        .value_kind:     hidden_block_count_z
      - .offset:         76
        .size:           2
        .value_kind:     hidden_group_size_x
      - .offset:         78
        .size:           2
        .value_kind:     hidden_group_size_y
      - .offset:         80
        .size:           2
        .value_kind:     hidden_group_size_z
      - .offset:         82
        .size:           2
        .value_kind:     hidden_remainder_x
      - .offset:         84
        .size:           2
        .value_kind:     hidden_remainder_y
      - .offset:         86
        .size:           2
        .value_kind:     hidden_remainder_z
      - .offset:         104
        .size:           8
        .value_kind:     hidden_global_offset_x
      - .offset:         112
        .size:           8
        .value_kind:     hidden_global_offset_y
      - .offset:         120
        .size:           8
        .value_kind:     hidden_global_offset_z
      - .offset:         128
        .size:           2
        .value_kind:     hidden_grid_dims
    .group_segment_fixed_size: 0
    .kernarg_segment_align: 8
    .kernarg_segment_size: 320
    .language:       OpenCL C
    .language_version:
      - 2
      - 0
    .max_flat_workgroup_size: 128
    .name:           _ZN12_GLOBAL__N_141elementwise_kernel_with_index_grid_strideIlZZZN2at6native17logspace_cuda_outERKN3c106ScalarES6_ldRNS1_6TensorEENKUlvE0_clEvENKUlvE2_clEvEUllE_EEvT_T0_PN15function_traitsISD_E11result_typeE
    .private_segment_fixed_size: 0
    .sgpr_count:     54
    .sgpr_spill_count: 0
    .symbol:         _ZN12_GLOBAL__N_141elementwise_kernel_with_index_grid_strideIlZZZN2at6native17logspace_cuda_outERKN3c106ScalarES6_ldRNS1_6TensorEENKUlvE0_clEvENKUlvE2_clEvEUllE_EEvT_T0_PN15function_traitsISD_E11result_typeE.kd
    .uniform_work_group_size: 1
    .uses_dynamic_stack: false
    .vgpr_count:     25
    .vgpr_spill_count: 0
    .wavefront_size: 64
  - .args:
      - .offset:         0
        .size:           4
        .value_kind:     by_value
      - .offset:         8
        .size:           32
        .value_kind:     by_value
      - .address_space:  global
        .offset:         40
        .size:           8
        .value_kind:     global_buffer
      - .offset:         48
        .size:           4
        .value_kind:     hidden_block_count_x
      - .offset:         52
        .size:           4
        .value_kind:     hidden_block_count_y
      - .offset:         56
        .size:           4
        .value_kind:     hidden_block_count_z
      - .offset:         60
        .size:           2
        .value_kind:     hidden_group_size_x
      - .offset:         62
        .size:           2
        .value_kind:     hidden_group_size_y
      - .offset:         64
        .size:           2
        .value_kind:     hidden_group_size_z
      - .offset:         66
        .size:           2
        .value_kind:     hidden_remainder_x
      - .offset:         68
        .size:           2
        .value_kind:     hidden_remainder_y
      - .offset:         70
        .size:           2
        .value_kind:     hidden_remainder_z
      - .offset:         88
        .size:           8
        .value_kind:     hidden_global_offset_x
      - .offset:         96
        .size:           8
        .value_kind:     hidden_global_offset_y
      - .offset:         104
        .size:           8
        .value_kind:     hidden_global_offset_z
      - .offset:         112
        .size:           2
        .value_kind:     hidden_grid_dims
    .group_segment_fixed_size: 0
    .kernarg_segment_align: 8
    .kernarg_segment_size: 304
    .language:       OpenCL C
    .language_version:
      - 2
      - 0
    .max_flat_workgroup_size: 128
    .name:           _ZN12_GLOBAL__N_141elementwise_kernel_with_index_grid_strideIiZZZN2at6native17logspace_cuda_outERKN3c106ScalarES6_ldRNS1_6TensorEENKUlvE0_clEvENKUlvE3_clEvEUllE_EEvT_T0_PN15function_traitsISD_E11result_typeE
    .private_segment_fixed_size: 0
    .sgpr_count:     32
    .sgpr_spill_count: 0
    .symbol:         _ZN12_GLOBAL__N_141elementwise_kernel_with_index_grid_strideIiZZZN2at6native17logspace_cuda_outERKN3c106ScalarES6_ldRNS1_6TensorEENKUlvE0_clEvENKUlvE3_clEvEUllE_EEvT_T0_PN15function_traitsISD_E11result_typeE.kd
    .uniform_work_group_size: 1
    .uses_dynamic_stack: false
    .vgpr_count:     23
    .vgpr_spill_count: 0
    .wavefront_size: 64
  - .args:
      - .offset:         0
        .size:           8
        .value_kind:     by_value
      - .offset:         8
        .size:           32
        .value_kind:     by_value
      - .address_space:  global
        .offset:         40
        .size:           8
        .value_kind:     global_buffer
      - .offset:         48
        .size:           4
        .value_kind:     hidden_block_count_x
      - .offset:         52
        .size:           4
        .value_kind:     hidden_block_count_y
      - .offset:         56
        .size:           4
        .value_kind:     hidden_block_count_z
      - .offset:         60
        .size:           2
        .value_kind:     hidden_group_size_x
      - .offset:         62
        .size:           2
        .value_kind:     hidden_group_size_y
      - .offset:         64
        .size:           2
        .value_kind:     hidden_group_size_z
      - .offset:         66
        .size:           2
        .value_kind:     hidden_remainder_x
      - .offset:         68
        .size:           2
        .value_kind:     hidden_remainder_y
      - .offset:         70
        .size:           2
        .value_kind:     hidden_remainder_z
      - .offset:         88
        .size:           8
        .value_kind:     hidden_global_offset_x
      - .offset:         96
        .size:           8
        .value_kind:     hidden_global_offset_y
      - .offset:         104
        .size:           8
        .value_kind:     hidden_global_offset_z
      - .offset:         112
        .size:           2
        .value_kind:     hidden_grid_dims
    .group_segment_fixed_size: 0
    .kernarg_segment_align: 8
    .kernarg_segment_size: 304
    .language:       OpenCL C
    .language_version:
      - 2
      - 0
    .max_flat_workgroup_size: 128
    .name:           _ZN12_GLOBAL__N_141elementwise_kernel_with_index_grid_strideIlZZZN2at6native17logspace_cuda_outERKN3c106ScalarES6_ldRNS1_6TensorEENKUlvE0_clEvENKUlvE3_clEvEUllE_EEvT_T0_PN15function_traitsISD_E11result_typeE
    .private_segment_fixed_size: 0
    .sgpr_count:     34
    .sgpr_spill_count: 0
    .symbol:         _ZN12_GLOBAL__N_141elementwise_kernel_with_index_grid_strideIlZZZN2at6native17logspace_cuda_outERKN3c106ScalarES6_ldRNS1_6TensorEENKUlvE0_clEvENKUlvE3_clEvEUllE_EEvT_T0_PN15function_traitsISD_E11result_typeE.kd
    .uniform_work_group_size: 1
    .uses_dynamic_stack: false
    .vgpr_count:     23
    .vgpr_spill_count: 0
    .wavefront_size: 64
  - .args:
      - .offset:         0
        .size:           4
        .value_kind:     by_value
      - .offset:         8
        .size:           32
        .value_kind:     by_value
      - .address_space:  global
        .offset:         40
        .size:           8
        .value_kind:     global_buffer
      - .offset:         48
        .size:           4
        .value_kind:     hidden_block_count_x
      - .offset:         52
        .size:           4
        .value_kind:     hidden_block_count_y
      - .offset:         56
        .size:           4
        .value_kind:     hidden_block_count_z
      - .offset:         60
        .size:           2
        .value_kind:     hidden_group_size_x
      - .offset:         62
        .size:           2
        .value_kind:     hidden_group_size_y
      - .offset:         64
        .size:           2
        .value_kind:     hidden_group_size_z
      - .offset:         66
        .size:           2
        .value_kind:     hidden_remainder_x
      - .offset:         68
        .size:           2
        .value_kind:     hidden_remainder_y
      - .offset:         70
        .size:           2
        .value_kind:     hidden_remainder_z
      - .offset:         88
        .size:           8
        .value_kind:     hidden_global_offset_x
      - .offset:         96
        .size:           8
        .value_kind:     hidden_global_offset_y
      - .offset:         104
        .size:           8
        .value_kind:     hidden_global_offset_z
      - .offset:         112
        .size:           2
        .value_kind:     hidden_grid_dims
    .group_segment_fixed_size: 0
    .kernarg_segment_align: 8
    .kernarg_segment_size: 304
    .language:       OpenCL C
    .language_version:
      - 2
      - 0
    .max_flat_workgroup_size: 128
    .name:           _ZN12_GLOBAL__N_141elementwise_kernel_with_index_grid_strideIiZZZN2at6native17logspace_cuda_outERKN3c106ScalarES6_ldRNS1_6TensorEENKUlvE0_clEvENKUlvE4_clEvEUllE_EEvT_T0_PN15function_traitsISD_E11result_typeE
    .private_segment_fixed_size: 0
    .sgpr_count:     34
    .sgpr_spill_count: 0
    .symbol:         _ZN12_GLOBAL__N_141elementwise_kernel_with_index_grid_strideIiZZZN2at6native17logspace_cuda_outERKN3c106ScalarES6_ldRNS1_6TensorEENKUlvE0_clEvENKUlvE4_clEvEUllE_EEvT_T0_PN15function_traitsISD_E11result_typeE.kd
    .uniform_work_group_size: 1
    .uses_dynamic_stack: false
    .vgpr_count:     23
    .vgpr_spill_count: 0
    .wavefront_size: 64
  - .args:
      - .offset:         0
        .size:           8
        .value_kind:     by_value
      - .offset:         8
        .size:           32
        .value_kind:     by_value
      - .address_space:  global
        .offset:         40
        .size:           8
        .value_kind:     global_buffer
      - .offset:         48
        .size:           4
        .value_kind:     hidden_block_count_x
      - .offset:         52
        .size:           4
        .value_kind:     hidden_block_count_y
      - .offset:         56
        .size:           4
        .value_kind:     hidden_block_count_z
      - .offset:         60
        .size:           2
        .value_kind:     hidden_group_size_x
      - .offset:         62
        .size:           2
        .value_kind:     hidden_group_size_y
      - .offset:         64
        .size:           2
        .value_kind:     hidden_group_size_z
      - .offset:         66
        .size:           2
        .value_kind:     hidden_remainder_x
      - .offset:         68
        .size:           2
        .value_kind:     hidden_remainder_y
      - .offset:         70
        .size:           2
        .value_kind:     hidden_remainder_z
      - .offset:         88
        .size:           8
        .value_kind:     hidden_global_offset_x
      - .offset:         96
        .size:           8
        .value_kind:     hidden_global_offset_y
      - .offset:         104
        .size:           8
        .value_kind:     hidden_global_offset_z
      - .offset:         112
        .size:           2
        .value_kind:     hidden_grid_dims
    .group_segment_fixed_size: 0
    .kernarg_segment_align: 8
    .kernarg_segment_size: 304
    .language:       OpenCL C
    .language_version:
      - 2
      - 0
    .max_flat_workgroup_size: 128
    .name:           _ZN12_GLOBAL__N_141elementwise_kernel_with_index_grid_strideIlZZZN2at6native17logspace_cuda_outERKN3c106ScalarES6_ldRNS1_6TensorEENKUlvE0_clEvENKUlvE4_clEvEUllE_EEvT_T0_PN15function_traitsISD_E11result_typeE
    .private_segment_fixed_size: 0
    .sgpr_count:     36
    .sgpr_spill_count: 0
    .symbol:         _ZN12_GLOBAL__N_141elementwise_kernel_with_index_grid_strideIlZZZN2at6native17logspace_cuda_outERKN3c106ScalarES6_ldRNS1_6TensorEENKUlvE0_clEvENKUlvE4_clEvEUllE_EEvT_T0_PN15function_traitsISD_E11result_typeE.kd
    .uniform_work_group_size: 1
    .uses_dynamic_stack: false
    .vgpr_count:     23
    .vgpr_spill_count: 0
    .wavefront_size: 64
  - .args:
      - .offset:         0
        .size:           4
        .value_kind:     by_value
      - .offset:         8
        .size:           16
        .value_kind:     by_value
      - .address_space:  global
        .offset:         24
        .size:           8
        .value_kind:     global_buffer
      - .offset:         32
        .size:           4
        .value_kind:     hidden_block_count_x
      - .offset:         36
        .size:           4
        .value_kind:     hidden_block_count_y
      - .offset:         40
        .size:           4
        .value_kind:     hidden_block_count_z
      - .offset:         44
        .size:           2
        .value_kind:     hidden_group_size_x
      - .offset:         46
        .size:           2
        .value_kind:     hidden_group_size_y
      - .offset:         48
        .size:           2
        .value_kind:     hidden_group_size_z
      - .offset:         50
        .size:           2
        .value_kind:     hidden_remainder_x
      - .offset:         52
        .size:           2
        .value_kind:     hidden_remainder_y
      - .offset:         54
        .size:           2
        .value_kind:     hidden_remainder_z
      - .offset:         72
        .size:           8
        .value_kind:     hidden_global_offset_x
      - .offset:         80
        .size:           8
        .value_kind:     hidden_global_offset_y
      - .offset:         88
        .size:           8
        .value_kind:     hidden_global_offset_z
      - .offset:         96
        .size:           2
        .value_kind:     hidden_grid_dims
    .group_segment_fixed_size: 0
    .kernarg_segment_align: 8
    .kernarg_segment_size: 288
    .language:       OpenCL C
    .language_version:
      - 2
      - 0
    .max_flat_workgroup_size: 128
    .name:           _ZN12_GLOBAL__N_141elementwise_kernel_with_index_grid_strideIiZZZN2at6native14range_cuda_outERKN3c106ScalarES6_S6_RNS1_6TensorEENKUlvE_clEvENKUlvE_clEvEUllE_EEvT_T0_PN15function_traitsISD_E11result_typeE
    .private_segment_fixed_size: 0
    .sgpr_count:     26
    .sgpr_spill_count: 0
    .symbol:         _ZN12_GLOBAL__N_141elementwise_kernel_with_index_grid_strideIiZZZN2at6native14range_cuda_outERKN3c106ScalarES6_S6_RNS1_6TensorEENKUlvE_clEvENKUlvE_clEvEUllE_EEvT_T0_PN15function_traitsISD_E11result_typeE.kd
    .uniform_work_group_size: 1
    .uses_dynamic_stack: false
    .vgpr_count:     24
    .vgpr_spill_count: 0
    .wavefront_size: 64
  - .args:
      - .offset:         0
        .size:           8
        .value_kind:     by_value
      - .offset:         8
        .size:           16
        .value_kind:     by_value
      - .address_space:  global
        .offset:         24
        .size:           8
        .value_kind:     global_buffer
      - .offset:         32
        .size:           4
        .value_kind:     hidden_block_count_x
      - .offset:         36
        .size:           4
        .value_kind:     hidden_block_count_y
      - .offset:         40
        .size:           4
        .value_kind:     hidden_block_count_z
      - .offset:         44
        .size:           2
        .value_kind:     hidden_group_size_x
      - .offset:         46
        .size:           2
        .value_kind:     hidden_group_size_y
      - .offset:         48
        .size:           2
        .value_kind:     hidden_group_size_z
      - .offset:         50
        .size:           2
        .value_kind:     hidden_remainder_x
      - .offset:         52
        .size:           2
        .value_kind:     hidden_remainder_y
      - .offset:         54
        .size:           2
        .value_kind:     hidden_remainder_z
      - .offset:         72
        .size:           8
        .value_kind:     hidden_global_offset_x
      - .offset:         80
        .size:           8
        .value_kind:     hidden_global_offset_y
      - .offset:         88
        .size:           8
        .value_kind:     hidden_global_offset_z
      - .offset:         96
        .size:           2
        .value_kind:     hidden_grid_dims
    .group_segment_fixed_size: 0
    .kernarg_segment_align: 8
    .kernarg_segment_size: 288
    .language:       OpenCL C
    .language_version:
      - 2
      - 0
    .max_flat_workgroup_size: 128
    .name:           _ZN12_GLOBAL__N_141elementwise_kernel_with_index_grid_strideIlZZZN2at6native14range_cuda_outERKN3c106ScalarES6_S6_RNS1_6TensorEENKUlvE_clEvENKUlvE_clEvEUllE_EEvT_T0_PN15function_traitsISD_E11result_typeE
    .private_segment_fixed_size: 0
    .sgpr_count:     51
    .sgpr_spill_count: 0
    .symbol:         _ZN12_GLOBAL__N_141elementwise_kernel_with_index_grid_strideIlZZZN2at6native14range_cuda_outERKN3c106ScalarES6_S6_RNS1_6TensorEENKUlvE_clEvENKUlvE_clEvEUllE_EEvT_T0_PN15function_traitsISD_E11result_typeE.kd
    .uniform_work_group_size: 1
    .uses_dynamic_stack: false
    .vgpr_count:     21
    .vgpr_spill_count: 0
    .wavefront_size: 64
  - .args:
      - .offset:         0
        .size:           4
        .value_kind:     by_value
      - .offset:         8
        .size:           16
        .value_kind:     by_value
      - .address_space:  global
        .offset:         24
        .size:           8
        .value_kind:     global_buffer
      - .offset:         32
        .size:           4
        .value_kind:     hidden_block_count_x
      - .offset:         36
        .size:           4
        .value_kind:     hidden_block_count_y
      - .offset:         40
        .size:           4
        .value_kind:     hidden_block_count_z
      - .offset:         44
        .size:           2
        .value_kind:     hidden_group_size_x
      - .offset:         46
        .size:           2
        .value_kind:     hidden_group_size_y
      - .offset:         48
        .size:           2
        .value_kind:     hidden_group_size_z
      - .offset:         50
        .size:           2
        .value_kind:     hidden_remainder_x
      - .offset:         52
        .size:           2
        .value_kind:     hidden_remainder_y
      - .offset:         54
        .size:           2
        .value_kind:     hidden_remainder_z
      - .offset:         72
        .size:           8
        .value_kind:     hidden_global_offset_x
      - .offset:         80
        .size:           8
        .value_kind:     hidden_global_offset_y
      - .offset:         88
        .size:           8
        .value_kind:     hidden_global_offset_z
      - .offset:         96
        .size:           2
        .value_kind:     hidden_grid_dims
    .group_segment_fixed_size: 0
    .kernarg_segment_align: 8
    .kernarg_segment_size: 288
    .language:       OpenCL C
    .language_version:
      - 2
      - 0
    .max_flat_workgroup_size: 128
    .name:           _ZN12_GLOBAL__N_141elementwise_kernel_with_index_grid_strideIiZZZN2at6native14range_cuda_outERKN3c106ScalarES6_S6_RNS1_6TensorEENKUlvE_clEvENKUlvE0_clEvEUllE_EEvT_T0_PN15function_traitsISD_E11result_typeE
    .private_segment_fixed_size: 0
    .sgpr_count:     26
    .sgpr_spill_count: 0
    .symbol:         _ZN12_GLOBAL__N_141elementwise_kernel_with_index_grid_strideIiZZZN2at6native14range_cuda_outERKN3c106ScalarES6_S6_RNS1_6TensorEENKUlvE_clEvENKUlvE0_clEvEUllE_EEvT_T0_PN15function_traitsISD_E11result_typeE.kd
    .uniform_work_group_size: 1
    .uses_dynamic_stack: false
    .vgpr_count:     24
    .vgpr_spill_count: 0
    .wavefront_size: 64
  - .args:
      - .offset:         0
        .size:           8
        .value_kind:     by_value
      - .offset:         8
        .size:           16
        .value_kind:     by_value
      - .address_space:  global
        .offset:         24
        .size:           8
        .value_kind:     global_buffer
      - .offset:         32
        .size:           4
        .value_kind:     hidden_block_count_x
      - .offset:         36
        .size:           4
        .value_kind:     hidden_block_count_y
      - .offset:         40
        .size:           4
        .value_kind:     hidden_block_count_z
      - .offset:         44
        .size:           2
        .value_kind:     hidden_group_size_x
      - .offset:         46
        .size:           2
        .value_kind:     hidden_group_size_y
      - .offset:         48
        .size:           2
        .value_kind:     hidden_group_size_z
      - .offset:         50
        .size:           2
        .value_kind:     hidden_remainder_x
      - .offset:         52
        .size:           2
        .value_kind:     hidden_remainder_y
      - .offset:         54
        .size:           2
        .value_kind:     hidden_remainder_z
      - .offset:         72
        .size:           8
        .value_kind:     hidden_global_offset_x
      - .offset:         80
        .size:           8
        .value_kind:     hidden_global_offset_y
      - .offset:         88
        .size:           8
        .value_kind:     hidden_global_offset_z
      - .offset:         96
        .size:           2
        .value_kind:     hidden_grid_dims
    .group_segment_fixed_size: 0
    .kernarg_segment_align: 8
    .kernarg_segment_size: 288
    .language:       OpenCL C
    .language_version:
      - 2
      - 0
    .max_flat_workgroup_size: 128
    .name:           _ZN12_GLOBAL__N_141elementwise_kernel_with_index_grid_strideIlZZZN2at6native14range_cuda_outERKN3c106ScalarES6_S6_RNS1_6TensorEENKUlvE_clEvENKUlvE0_clEvEUllE_EEvT_T0_PN15function_traitsISD_E11result_typeE
    .private_segment_fixed_size: 0
    .sgpr_count:     51
    .sgpr_spill_count: 0
    .symbol:         _ZN12_GLOBAL__N_141elementwise_kernel_with_index_grid_strideIlZZZN2at6native14range_cuda_outERKN3c106ScalarES6_S6_RNS1_6TensorEENKUlvE_clEvENKUlvE0_clEvEUllE_EEvT_T0_PN15function_traitsISD_E11result_typeE.kd
    .uniform_work_group_size: 1
    .uses_dynamic_stack: false
    .vgpr_count:     21
    .vgpr_spill_count: 0
    .wavefront_size: 64
  - .args:
      - .offset:         0
        .size:           4
        .value_kind:     by_value
      - .offset:         8
        .size:           16
        .value_kind:     by_value
      - .address_space:  global
        .offset:         24
        .size:           8
        .value_kind:     global_buffer
      - .offset:         32
        .size:           4
        .value_kind:     hidden_block_count_x
      - .offset:         36
        .size:           4
        .value_kind:     hidden_block_count_y
      - .offset:         40
        .size:           4
        .value_kind:     hidden_block_count_z
      - .offset:         44
        .size:           2
        .value_kind:     hidden_group_size_x
      - .offset:         46
        .size:           2
        .value_kind:     hidden_group_size_y
      - .offset:         48
        .size:           2
        .value_kind:     hidden_group_size_z
      - .offset:         50
        .size:           2
        .value_kind:     hidden_remainder_x
      - .offset:         52
        .size:           2
        .value_kind:     hidden_remainder_y
      - .offset:         54
        .size:           2
        .value_kind:     hidden_remainder_z
      - .offset:         72
        .size:           8
        .value_kind:     hidden_global_offset_x
      - .offset:         80
        .size:           8
        .value_kind:     hidden_global_offset_y
      - .offset:         88
        .size:           8
        .value_kind:     hidden_global_offset_z
      - .offset:         96
        .size:           2
        .value_kind:     hidden_grid_dims
    .group_segment_fixed_size: 0
    .kernarg_segment_align: 8
    .kernarg_segment_size: 288
    .language:       OpenCL C
    .language_version:
      - 2
      - 0
    .max_flat_workgroup_size: 128
    .name:           _ZN12_GLOBAL__N_141elementwise_kernel_with_index_grid_strideIiZZZN2at6native14range_cuda_outERKN3c106ScalarES6_S6_RNS1_6TensorEENKUlvE_clEvENKUlvE1_clEvEUllE_EEvT_T0_PN15function_traitsISD_E11result_typeE
    .private_segment_fixed_size: 0
    .sgpr_count:     18
    .sgpr_spill_count: 0
    .symbol:         _ZN12_GLOBAL__N_141elementwise_kernel_with_index_grid_strideIiZZZN2at6native14range_cuda_outERKN3c106ScalarES6_S6_RNS1_6TensorEENKUlvE_clEvENKUlvE1_clEvEUllE_EEvT_T0_PN15function_traitsISD_E11result_typeE.kd
    .uniform_work_group_size: 1
    .uses_dynamic_stack: false
    .vgpr_count:     5
    .vgpr_spill_count: 0
    .wavefront_size: 64
  - .args:
      - .offset:         0
        .size:           8
        .value_kind:     by_value
      - .offset:         8
        .size:           16
        .value_kind:     by_value
      - .address_space:  global
        .offset:         24
        .size:           8
        .value_kind:     global_buffer
      - .offset:         32
        .size:           4
        .value_kind:     hidden_block_count_x
      - .offset:         36
        .size:           4
        .value_kind:     hidden_block_count_y
      - .offset:         40
        .size:           4
        .value_kind:     hidden_block_count_z
      - .offset:         44
        .size:           2
        .value_kind:     hidden_group_size_x
      - .offset:         46
        .size:           2
        .value_kind:     hidden_group_size_y
      - .offset:         48
        .size:           2
        .value_kind:     hidden_group_size_z
      - .offset:         50
        .size:           2
        .value_kind:     hidden_remainder_x
      - .offset:         52
        .size:           2
        .value_kind:     hidden_remainder_y
      - .offset:         54
        .size:           2
        .value_kind:     hidden_remainder_z
      - .offset:         72
        .size:           8
        .value_kind:     hidden_global_offset_x
      - .offset:         80
        .size:           8
        .value_kind:     hidden_global_offset_y
      - .offset:         88
        .size:           8
        .value_kind:     hidden_global_offset_z
      - .offset:         96
        .size:           2
        .value_kind:     hidden_grid_dims
    .group_segment_fixed_size: 0
    .kernarg_segment_align: 8
    .kernarg_segment_size: 288
    .language:       OpenCL C
    .language_version:
      - 2
      - 0
    .max_flat_workgroup_size: 128
    .name:           _ZN12_GLOBAL__N_141elementwise_kernel_with_index_grid_strideIlZZZN2at6native14range_cuda_outERKN3c106ScalarES6_S6_RNS1_6TensorEENKUlvE_clEvENKUlvE1_clEvEUllE_EEvT_T0_PN15function_traitsISD_E11result_typeE
    .private_segment_fixed_size: 0
    .sgpr_count:     20
    .sgpr_spill_count: 0
    .symbol:         _ZN12_GLOBAL__N_141elementwise_kernel_with_index_grid_strideIlZZZN2at6native14range_cuda_outERKN3c106ScalarES6_S6_RNS1_6TensorEENKUlvE_clEvENKUlvE1_clEvEUllE_EEvT_T0_PN15function_traitsISD_E11result_typeE.kd
    .uniform_work_group_size: 1
    .uses_dynamic_stack: false
    .vgpr_count:     7
    .vgpr_spill_count: 0
    .wavefront_size: 64
  - .args:
      - .offset:         0
        .size:           4
        .value_kind:     by_value
      - .offset:         8
        .size:           16
        .value_kind:     by_value
      - .address_space:  global
        .offset:         24
        .size:           8
        .value_kind:     global_buffer
      - .offset:         32
        .size:           4
        .value_kind:     hidden_block_count_x
      - .offset:         36
        .size:           4
        .value_kind:     hidden_block_count_y
      - .offset:         40
        .size:           4
        .value_kind:     hidden_block_count_z
      - .offset:         44
        .size:           2
        .value_kind:     hidden_group_size_x
      - .offset:         46
        .size:           2
        .value_kind:     hidden_group_size_y
      - .offset:         48
        .size:           2
        .value_kind:     hidden_group_size_z
      - .offset:         50
        .size:           2
        .value_kind:     hidden_remainder_x
      - .offset:         52
        .size:           2
        .value_kind:     hidden_remainder_y
      - .offset:         54
        .size:           2
        .value_kind:     hidden_remainder_z
      - .offset:         72
        .size:           8
        .value_kind:     hidden_global_offset_x
      - .offset:         80
        .size:           8
        .value_kind:     hidden_global_offset_y
      - .offset:         88
        .size:           8
        .value_kind:     hidden_global_offset_z
      - .offset:         96
        .size:           2
        .value_kind:     hidden_grid_dims
    .group_segment_fixed_size: 0
    .kernarg_segment_align: 8
    .kernarg_segment_size: 288
    .language:       OpenCL C
    .language_version:
      - 2
      - 0
    .max_flat_workgroup_size: 128
    .name:           _ZN12_GLOBAL__N_141elementwise_kernel_with_index_grid_strideIiZZZN2at6native14range_cuda_outERKN3c106ScalarES6_S6_RNS1_6TensorEENKUlvE_clEvENKUlvE2_clEvEUllE_EEvT_T0_PN15function_traitsISD_E11result_typeE
    .private_segment_fixed_size: 0
    .sgpr_count:     20
    .sgpr_spill_count: 0
    .symbol:         _ZN12_GLOBAL__N_141elementwise_kernel_with_index_grid_strideIiZZZN2at6native14range_cuda_outERKN3c106ScalarES6_S6_RNS1_6TensorEENKUlvE_clEvENKUlvE2_clEvEUllE_EEvT_T0_PN15function_traitsISD_E11result_typeE.kd
    .uniform_work_group_size: 1
    .uses_dynamic_stack: false
    .vgpr_count:     9
    .vgpr_spill_count: 0
    .wavefront_size: 64
  - .args:
      - .offset:         0
        .size:           8
        .value_kind:     by_value
      - .offset:         8
        .size:           16
        .value_kind:     by_value
      - .address_space:  global
        .offset:         24
        .size:           8
        .value_kind:     global_buffer
      - .offset:         32
        .size:           4
        .value_kind:     hidden_block_count_x
      - .offset:         36
        .size:           4
        .value_kind:     hidden_block_count_y
      - .offset:         40
        .size:           4
        .value_kind:     hidden_block_count_z
      - .offset:         44
        .size:           2
        .value_kind:     hidden_group_size_x
      - .offset:         46
        .size:           2
        .value_kind:     hidden_group_size_y
      - .offset:         48
        .size:           2
        .value_kind:     hidden_group_size_z
      - .offset:         50
        .size:           2
        .value_kind:     hidden_remainder_x
      - .offset:         52
        .size:           2
        .value_kind:     hidden_remainder_y
      - .offset:         54
        .size:           2
        .value_kind:     hidden_remainder_z
      - .offset:         72
        .size:           8
        .value_kind:     hidden_global_offset_x
      - .offset:         80
        .size:           8
        .value_kind:     hidden_global_offset_y
      - .offset:         88
        .size:           8
        .value_kind:     hidden_global_offset_z
      - .offset:         96
        .size:           2
        .value_kind:     hidden_grid_dims
    .group_segment_fixed_size: 0
    .kernarg_segment_align: 8
    .kernarg_segment_size: 288
    .language:       OpenCL C
    .language_version:
      - 2
      - 0
    .max_flat_workgroup_size: 128
    .name:           _ZN12_GLOBAL__N_141elementwise_kernel_with_index_grid_strideIlZZZN2at6native14range_cuda_outERKN3c106ScalarES6_S6_RNS1_6TensorEENKUlvE_clEvENKUlvE2_clEvEUllE_EEvT_T0_PN15function_traitsISD_E11result_typeE
    .private_segment_fixed_size: 0
    .sgpr_count:     20
    .sgpr_spill_count: 0
    .symbol:         _ZN12_GLOBAL__N_141elementwise_kernel_with_index_grid_strideIlZZZN2at6native14range_cuda_outERKN3c106ScalarES6_S6_RNS1_6TensorEENKUlvE_clEvENKUlvE2_clEvEUllE_EEvT_T0_PN15function_traitsISD_E11result_typeE.kd
    .uniform_work_group_size: 1
    .uses_dynamic_stack: false
    .vgpr_count:     9
    .vgpr_spill_count: 0
    .wavefront_size: 64
  - .args:
      - .offset:         0
        .size:           4
        .value_kind:     by_value
      - .offset:         8
        .size:           16
        .value_kind:     by_value
      - .address_space:  global
        .offset:         24
        .size:           8
        .value_kind:     global_buffer
      - .offset:         32
        .size:           4
        .value_kind:     hidden_block_count_x
      - .offset:         36
        .size:           4
        .value_kind:     hidden_block_count_y
      - .offset:         40
        .size:           4
        .value_kind:     hidden_block_count_z
      - .offset:         44
        .size:           2
        .value_kind:     hidden_group_size_x
      - .offset:         46
        .size:           2
        .value_kind:     hidden_group_size_y
      - .offset:         48
        .size:           2
        .value_kind:     hidden_group_size_z
      - .offset:         50
        .size:           2
        .value_kind:     hidden_remainder_x
      - .offset:         52
        .size:           2
        .value_kind:     hidden_remainder_y
      - .offset:         54
        .size:           2
        .value_kind:     hidden_remainder_z
      - .offset:         72
        .size:           8
        .value_kind:     hidden_global_offset_x
      - .offset:         80
        .size:           8
        .value_kind:     hidden_global_offset_y
      - .offset:         88
        .size:           8
        .value_kind:     hidden_global_offset_z
      - .offset:         96
        .size:           2
        .value_kind:     hidden_grid_dims
    .group_segment_fixed_size: 0
    .kernarg_segment_align: 8
    .kernarg_segment_size: 288
    .language:       OpenCL C
    .language_version:
      - 2
      - 0
    .max_flat_workgroup_size: 128
    .name:           _ZN12_GLOBAL__N_141elementwise_kernel_with_index_grid_strideIiZZZN2at6native14range_cuda_outERKN3c106ScalarES6_S6_RNS1_6TensorEENKUlvE_clEvENKUlvE3_clEvEUllE_EEvT_T0_PN15function_traitsISD_E11result_typeE
    .private_segment_fixed_size: 0
    .sgpr_count:     22
    .sgpr_spill_count: 0
    .symbol:         _ZN12_GLOBAL__N_141elementwise_kernel_with_index_grid_strideIiZZZN2at6native14range_cuda_outERKN3c106ScalarES6_S6_RNS1_6TensorEENKUlvE_clEvENKUlvE3_clEvEUllE_EEvT_T0_PN15function_traitsISD_E11result_typeE.kd
    .uniform_work_group_size: 1
    .uses_dynamic_stack: false
    .vgpr_count:     13
    .vgpr_spill_count: 0
    .wavefront_size: 64
  - .args:
      - .offset:         0
        .size:           8
        .value_kind:     by_value
      - .offset:         8
        .size:           16
        .value_kind:     by_value
      - .address_space:  global
        .offset:         24
        .size:           8
        .value_kind:     global_buffer
      - .offset:         32
        .size:           4
        .value_kind:     hidden_block_count_x
      - .offset:         36
        .size:           4
        .value_kind:     hidden_block_count_y
      - .offset:         40
        .size:           4
        .value_kind:     hidden_block_count_z
      - .offset:         44
        .size:           2
        .value_kind:     hidden_group_size_x
      - .offset:         46
        .size:           2
        .value_kind:     hidden_group_size_y
      - .offset:         48
        .size:           2
        .value_kind:     hidden_group_size_z
      - .offset:         50
        .size:           2
        .value_kind:     hidden_remainder_x
      - .offset:         52
        .size:           2
        .value_kind:     hidden_remainder_y
      - .offset:         54
        .size:           2
        .value_kind:     hidden_remainder_z
      - .offset:         72
        .size:           8
        .value_kind:     hidden_global_offset_x
      - .offset:         80
        .size:           8
        .value_kind:     hidden_global_offset_y
      - .offset:         88
        .size:           8
        .value_kind:     hidden_global_offset_z
      - .offset:         96
        .size:           2
        .value_kind:     hidden_grid_dims
    .group_segment_fixed_size: 0
    .kernarg_segment_align: 8
    .kernarg_segment_size: 288
    .language:       OpenCL C
    .language_version:
      - 2
      - 0
    .max_flat_workgroup_size: 128
    .name:           _ZN12_GLOBAL__N_141elementwise_kernel_with_index_grid_strideIlZZZN2at6native14range_cuda_outERKN3c106ScalarES6_S6_RNS1_6TensorEENKUlvE_clEvENKUlvE3_clEvEUllE_EEvT_T0_PN15function_traitsISD_E11result_typeE
    .private_segment_fixed_size: 0
    .sgpr_count:     29
    .sgpr_spill_count: 0
    .symbol:         _ZN12_GLOBAL__N_141elementwise_kernel_with_index_grid_strideIlZZZN2at6native14range_cuda_outERKN3c106ScalarES6_S6_RNS1_6TensorEENKUlvE_clEvENKUlvE3_clEvEUllE_EEvT_T0_PN15function_traitsISD_E11result_typeE.kd
    .uniform_work_group_size: 1
    .uses_dynamic_stack: false
    .vgpr_count:     22
    .vgpr_spill_count: 0
    .wavefront_size: 64
  - .args:
      - .offset:         0
        .size:           4
        .value_kind:     by_value
      - .offset:         8
        .size:           16
        .value_kind:     by_value
      - .address_space:  global
        .offset:         24
        .size:           8
        .value_kind:     global_buffer
      - .offset:         32
        .size:           4
        .value_kind:     hidden_block_count_x
      - .offset:         36
        .size:           4
        .value_kind:     hidden_block_count_y
      - .offset:         40
        .size:           4
        .value_kind:     hidden_block_count_z
      - .offset:         44
        .size:           2
        .value_kind:     hidden_group_size_x
      - .offset:         46
        .size:           2
        .value_kind:     hidden_group_size_y
      - .offset:         48
        .size:           2
        .value_kind:     hidden_group_size_z
      - .offset:         50
        .size:           2
        .value_kind:     hidden_remainder_x
      - .offset:         52
        .size:           2
        .value_kind:     hidden_remainder_y
      - .offset:         54
        .size:           2
        .value_kind:     hidden_remainder_z
      - .offset:         72
        .size:           8
        .value_kind:     hidden_global_offset_x
      - .offset:         80
        .size:           8
        .value_kind:     hidden_global_offset_y
      - .offset:         88
        .size:           8
        .value_kind:     hidden_global_offset_z
      - .offset:         96
        .size:           2
        .value_kind:     hidden_grid_dims
    .group_segment_fixed_size: 0
    .kernarg_segment_align: 8
    .kernarg_segment_size: 288
    .language:       OpenCL C
    .language_version:
      - 2
      - 0
    .max_flat_workgroup_size: 128
    .name:           _ZN12_GLOBAL__N_141elementwise_kernel_with_index_grid_strideIiZZZN2at6native14range_cuda_outERKN3c106ScalarES6_S6_RNS1_6TensorEENKUlvE_clEvENKUlvE4_clEvEUllE_EEvT_T0_PN15function_traitsISD_E11result_typeE
    .private_segment_fixed_size: 0
    .sgpr_count:     18
    .sgpr_spill_count: 0
    .symbol:         _ZN12_GLOBAL__N_141elementwise_kernel_with_index_grid_strideIiZZZN2at6native14range_cuda_outERKN3c106ScalarES6_S6_RNS1_6TensorEENKUlvE_clEvENKUlvE4_clEvEUllE_EEvT_T0_PN15function_traitsISD_E11result_typeE.kd
    .uniform_work_group_size: 1
    .uses_dynamic_stack: false
    .vgpr_count:     8
    .vgpr_spill_count: 0
    .wavefront_size: 64
  - .args:
      - .offset:         0
        .size:           8
        .value_kind:     by_value
      - .offset:         8
        .size:           16
        .value_kind:     by_value
      - .address_space:  global
        .offset:         24
        .size:           8
        .value_kind:     global_buffer
      - .offset:         32
        .size:           4
        .value_kind:     hidden_block_count_x
      - .offset:         36
        .size:           4
        .value_kind:     hidden_block_count_y
      - .offset:         40
        .size:           4
        .value_kind:     hidden_block_count_z
      - .offset:         44
        .size:           2
        .value_kind:     hidden_group_size_x
      - .offset:         46
        .size:           2
        .value_kind:     hidden_group_size_y
      - .offset:         48
        .size:           2
        .value_kind:     hidden_group_size_z
      - .offset:         50
        .size:           2
        .value_kind:     hidden_remainder_x
      - .offset:         52
        .size:           2
        .value_kind:     hidden_remainder_y
      - .offset:         54
        .size:           2
        .value_kind:     hidden_remainder_z
      - .offset:         72
        .size:           8
        .value_kind:     hidden_global_offset_x
      - .offset:         80
        .size:           8
        .value_kind:     hidden_global_offset_y
      - .offset:         88
        .size:           8
        .value_kind:     hidden_global_offset_z
      - .offset:         96
        .size:           2
        .value_kind:     hidden_grid_dims
    .group_segment_fixed_size: 0
    .kernarg_segment_align: 8
    .kernarg_segment_size: 288
    .language:       OpenCL C
    .language_version:
      - 2
      - 0
    .max_flat_workgroup_size: 128
    .name:           _ZN12_GLOBAL__N_141elementwise_kernel_with_index_grid_strideIlZZZN2at6native14range_cuda_outERKN3c106ScalarES6_S6_RNS1_6TensorEENKUlvE_clEvENKUlvE4_clEvEUllE_EEvT_T0_PN15function_traitsISD_E11result_typeE
    .private_segment_fixed_size: 0
    .sgpr_count:     20
    .sgpr_spill_count: 0
    .symbol:         _ZN12_GLOBAL__N_141elementwise_kernel_with_index_grid_strideIlZZZN2at6native14range_cuda_outERKN3c106ScalarES6_S6_RNS1_6TensorEENKUlvE_clEvENKUlvE4_clEvEUllE_EEvT_T0_PN15function_traitsISD_E11result_typeE.kd
    .uniform_work_group_size: 1
    .uses_dynamic_stack: false
    .vgpr_count:     12
    .vgpr_spill_count: 0
    .wavefront_size: 64
  - .args:
      - .offset:         0
        .size:           4
        .value_kind:     by_value
      - .offset:         4
        .size:           8
        .value_kind:     by_value
      - .address_space:  global
        .offset:         16
        .size:           8
        .value_kind:     global_buffer
      - .offset:         24
        .size:           4
        .value_kind:     hidden_block_count_x
      - .offset:         28
        .size:           4
        .value_kind:     hidden_block_count_y
      - .offset:         32
        .size:           4
        .value_kind:     hidden_block_count_z
      - .offset:         36
        .size:           2
        .value_kind:     hidden_group_size_x
      - .offset:         38
        .size:           2
        .value_kind:     hidden_group_size_y
      - .offset:         40
        .size:           2
        .value_kind:     hidden_group_size_z
      - .offset:         42
        .size:           2
        .value_kind:     hidden_remainder_x
      - .offset:         44
        .size:           2
        .value_kind:     hidden_remainder_y
      - .offset:         46
        .size:           2
        .value_kind:     hidden_remainder_z
      - .offset:         64
        .size:           8
        .value_kind:     hidden_global_offset_x
      - .offset:         72
        .size:           8
        .value_kind:     hidden_global_offset_y
      - .offset:         80
        .size:           8
        .value_kind:     hidden_global_offset_z
      - .offset:         88
        .size:           2
        .value_kind:     hidden_grid_dims
    .group_segment_fixed_size: 0
    .kernarg_segment_align: 8
    .kernarg_segment_size: 280
    .language:       OpenCL C
    .language_version:
      - 2
      - 0
    .max_flat_workgroup_size: 128
    .name:           _ZN12_GLOBAL__N_141elementwise_kernel_with_index_grid_strideIiZZZN2at6native14range_cuda_outERKN3c106ScalarES6_S6_RNS1_6TensorEENKUlvE_clEvENKUlvE5_clEvEUllE_EEvT_T0_PN15function_traitsISD_E11result_typeE
    .private_segment_fixed_size: 0
    .sgpr_count:     15
    .sgpr_spill_count: 0
    .symbol:         _ZN12_GLOBAL__N_141elementwise_kernel_with_index_grid_strideIiZZZN2at6native14range_cuda_outERKN3c106ScalarES6_S6_RNS1_6TensorEENKUlvE_clEvENKUlvE5_clEvEUllE_EEvT_T0_PN15function_traitsISD_E11result_typeE.kd
    .uniform_work_group_size: 1
    .uses_dynamic_stack: false
    .vgpr_count:     6
    .vgpr_spill_count: 0
    .wavefront_size: 64
  - .args:
      - .offset:         0
        .size:           8
        .value_kind:     by_value
      - .offset:         8
        .size:           8
        .value_kind:     by_value
      - .address_space:  global
        .offset:         16
        .size:           8
        .value_kind:     global_buffer
      - .offset:         24
        .size:           4
        .value_kind:     hidden_block_count_x
      - .offset:         28
        .size:           4
        .value_kind:     hidden_block_count_y
      - .offset:         32
        .size:           4
        .value_kind:     hidden_block_count_z
      - .offset:         36
        .size:           2
        .value_kind:     hidden_group_size_x
      - .offset:         38
        .size:           2
        .value_kind:     hidden_group_size_y
      - .offset:         40
        .size:           2
        .value_kind:     hidden_group_size_z
      - .offset:         42
        .size:           2
        .value_kind:     hidden_remainder_x
      - .offset:         44
        .size:           2
        .value_kind:     hidden_remainder_y
      - .offset:         46
        .size:           2
        .value_kind:     hidden_remainder_z
      - .offset:         64
        .size:           8
        .value_kind:     hidden_global_offset_x
      - .offset:         72
        .size:           8
        .value_kind:     hidden_global_offset_y
      - .offset:         80
        .size:           8
        .value_kind:     hidden_global_offset_z
      - .offset:         88
        .size:           2
        .value_kind:     hidden_grid_dims
    .group_segment_fixed_size: 0
    .kernarg_segment_align: 8
    .kernarg_segment_size: 280
    .language:       OpenCL C
    .language_version:
      - 2
      - 0
    .max_flat_workgroup_size: 128
    .name:           _ZN12_GLOBAL__N_141elementwise_kernel_with_index_grid_strideIlZZZN2at6native14range_cuda_outERKN3c106ScalarES6_S6_RNS1_6TensorEENKUlvE_clEvENKUlvE5_clEvEUllE_EEvT_T0_PN15function_traitsISD_E11result_typeE
    .private_segment_fixed_size: 0
    .sgpr_count:     16
    .sgpr_spill_count: 0
    .symbol:         _ZN12_GLOBAL__N_141elementwise_kernel_with_index_grid_strideIlZZZN2at6native14range_cuda_outERKN3c106ScalarES6_S6_RNS1_6TensorEENKUlvE_clEvENKUlvE5_clEvEUllE_EEvT_T0_PN15function_traitsISD_E11result_typeE.kd
    .uniform_work_group_size: 1
    .uses_dynamic_stack: false
    .vgpr_count:     10
    .vgpr_spill_count: 0
    .wavefront_size: 64
  - .args:
      - .offset:         0
        .size:           4
        .value_kind:     by_value
      - .offset:         4
        .size:           8
        .value_kind:     by_value
      - .address_space:  global
        .offset:         16
        .size:           8
        .value_kind:     global_buffer
      - .offset:         24
        .size:           4
        .value_kind:     hidden_block_count_x
      - .offset:         28
        .size:           4
        .value_kind:     hidden_block_count_y
      - .offset:         32
        .size:           4
        .value_kind:     hidden_block_count_z
      - .offset:         36
        .size:           2
        .value_kind:     hidden_group_size_x
      - .offset:         38
        .size:           2
        .value_kind:     hidden_group_size_y
      - .offset:         40
        .size:           2
        .value_kind:     hidden_group_size_z
      - .offset:         42
        .size:           2
        .value_kind:     hidden_remainder_x
      - .offset:         44
        .size:           2
        .value_kind:     hidden_remainder_y
      - .offset:         46
        .size:           2
        .value_kind:     hidden_remainder_z
      - .offset:         64
        .size:           8
        .value_kind:     hidden_global_offset_x
      - .offset:         72
        .size:           8
        .value_kind:     hidden_global_offset_y
      - .offset:         80
        .size:           8
        .value_kind:     hidden_global_offset_z
      - .offset:         88
        .size:           2
        .value_kind:     hidden_grid_dims
    .group_segment_fixed_size: 0
    .kernarg_segment_align: 8
    .kernarg_segment_size: 280
    .language:       OpenCL C
    .language_version:
      - 2
      - 0
    .max_flat_workgroup_size: 128
    .name:           _ZN12_GLOBAL__N_141elementwise_kernel_with_index_grid_strideIiZZZN2at6native14range_cuda_outERKN3c106ScalarES6_S6_RNS1_6TensorEENKUlvE_clEvENKUlvE6_clEvEUllE_EEvT_T0_PN15function_traitsISD_E11result_typeE
    .private_segment_fixed_size: 0
    .sgpr_count:     18
    .sgpr_spill_count: 0
    .symbol:         _ZN12_GLOBAL__N_141elementwise_kernel_with_index_grid_strideIiZZZN2at6native14range_cuda_outERKN3c106ScalarES6_S6_RNS1_6TensorEENKUlvE_clEvENKUlvE6_clEvEUllE_EEvT_T0_PN15function_traitsISD_E11result_typeE.kd
    .uniform_work_group_size: 1
    .uses_dynamic_stack: false
    .vgpr_count:     15
    .vgpr_spill_count: 0
    .wavefront_size: 64
  - .args:
      - .offset:         0
        .size:           8
        .value_kind:     by_value
      - .offset:         8
        .size:           8
        .value_kind:     by_value
      - .address_space:  global
        .offset:         16
        .size:           8
        .value_kind:     global_buffer
      - .offset:         24
        .size:           4
        .value_kind:     hidden_block_count_x
      - .offset:         28
        .size:           4
        .value_kind:     hidden_block_count_y
      - .offset:         32
        .size:           4
        .value_kind:     hidden_block_count_z
      - .offset:         36
        .size:           2
        .value_kind:     hidden_group_size_x
      - .offset:         38
        .size:           2
        .value_kind:     hidden_group_size_y
      - .offset:         40
        .size:           2
        .value_kind:     hidden_group_size_z
      - .offset:         42
        .size:           2
        .value_kind:     hidden_remainder_x
      - .offset:         44
        .size:           2
        .value_kind:     hidden_remainder_y
      - .offset:         46
        .size:           2
        .value_kind:     hidden_remainder_z
      - .offset:         64
        .size:           8
        .value_kind:     hidden_global_offset_x
      - .offset:         72
        .size:           8
        .value_kind:     hidden_global_offset_y
      - .offset:         80
        .size:           8
        .value_kind:     hidden_global_offset_z
      - .offset:         88
        .size:           2
        .value_kind:     hidden_grid_dims
    .group_segment_fixed_size: 0
    .kernarg_segment_align: 8
    .kernarg_segment_size: 280
    .language:       OpenCL C
    .language_version:
      - 2
      - 0
    .max_flat_workgroup_size: 128
    .name:           _ZN12_GLOBAL__N_141elementwise_kernel_with_index_grid_strideIlZZZN2at6native14range_cuda_outERKN3c106ScalarES6_S6_RNS1_6TensorEENKUlvE_clEvENKUlvE6_clEvEUllE_EEvT_T0_PN15function_traitsISD_E11result_typeE
    .private_segment_fixed_size: 0
    .sgpr_count:     27
    .sgpr_spill_count: 0
    .symbol:         _ZN12_GLOBAL__N_141elementwise_kernel_with_index_grid_strideIlZZZN2at6native14range_cuda_outERKN3c106ScalarES6_S6_RNS1_6TensorEENKUlvE_clEvENKUlvE6_clEvEUllE_EEvT_T0_PN15function_traitsISD_E11result_typeE.kd
    .uniform_work_group_size: 1
    .uses_dynamic_stack: false
    .vgpr_count:     25
    .vgpr_spill_count: 0
    .wavefront_size: 64
  - .args:
      - .offset:         0
        .size:           4
        .value_kind:     by_value
      - .offset:         8
        .size:           16
        .value_kind:     by_value
      - .address_space:  global
        .offset:         24
        .size:           8
        .value_kind:     global_buffer
      - .offset:         32
        .size:           4
        .value_kind:     hidden_block_count_x
      - .offset:         36
        .size:           4
        .value_kind:     hidden_block_count_y
      - .offset:         40
        .size:           4
        .value_kind:     hidden_block_count_z
      - .offset:         44
        .size:           2
        .value_kind:     hidden_group_size_x
      - .offset:         46
        .size:           2
        .value_kind:     hidden_group_size_y
      - .offset:         48
        .size:           2
        .value_kind:     hidden_group_size_z
      - .offset:         50
        .size:           2
        .value_kind:     hidden_remainder_x
      - .offset:         52
        .size:           2
        .value_kind:     hidden_remainder_y
      - .offset:         54
        .size:           2
        .value_kind:     hidden_remainder_z
      - .offset:         72
        .size:           8
        .value_kind:     hidden_global_offset_x
      - .offset:         80
        .size:           8
        .value_kind:     hidden_global_offset_y
      - .offset:         88
        .size:           8
        .value_kind:     hidden_global_offset_z
      - .offset:         96
        .size:           2
        .value_kind:     hidden_grid_dims
    .group_segment_fixed_size: 0
    .kernarg_segment_align: 8
    .kernarg_segment_size: 288
    .language:       OpenCL C
    .language_version:
      - 2
      - 0
    .max_flat_workgroup_size: 128
    .name:           _ZN12_GLOBAL__N_141elementwise_kernel_with_index_grid_strideIiZZZN2at6native15arange_cuda_outERKN3c106ScalarES6_S6_RNS1_6TensorEENKUlvE_clEvENKUlvE_clEvEUllE_EEvT_T0_PN15function_traitsISD_E11result_typeE
    .private_segment_fixed_size: 0
    .sgpr_count:     26
    .sgpr_spill_count: 0
    .symbol:         _ZN12_GLOBAL__N_141elementwise_kernel_with_index_grid_strideIiZZZN2at6native15arange_cuda_outERKN3c106ScalarES6_S6_RNS1_6TensorEENKUlvE_clEvENKUlvE_clEvEUllE_EEvT_T0_PN15function_traitsISD_E11result_typeE.kd
    .uniform_work_group_size: 1
    .uses_dynamic_stack: false
    .vgpr_count:     24
    .vgpr_spill_count: 0
    .wavefront_size: 64
  - .args:
      - .offset:         0
        .size:           8
        .value_kind:     by_value
      - .offset:         8
        .size:           16
        .value_kind:     by_value
      - .address_space:  global
        .offset:         24
        .size:           8
        .value_kind:     global_buffer
      - .offset:         32
        .size:           4
        .value_kind:     hidden_block_count_x
      - .offset:         36
        .size:           4
        .value_kind:     hidden_block_count_y
      - .offset:         40
        .size:           4
        .value_kind:     hidden_block_count_z
      - .offset:         44
        .size:           2
        .value_kind:     hidden_group_size_x
      - .offset:         46
        .size:           2
        .value_kind:     hidden_group_size_y
      - .offset:         48
        .size:           2
        .value_kind:     hidden_group_size_z
      - .offset:         50
        .size:           2
        .value_kind:     hidden_remainder_x
      - .offset:         52
        .size:           2
        .value_kind:     hidden_remainder_y
      - .offset:         54
        .size:           2
        .value_kind:     hidden_remainder_z
      - .offset:         72
        .size:           8
        .value_kind:     hidden_global_offset_x
      - .offset:         80
        .size:           8
        .value_kind:     hidden_global_offset_y
      - .offset:         88
        .size:           8
        .value_kind:     hidden_global_offset_z
      - .offset:         96
        .size:           2
        .value_kind:     hidden_grid_dims
    .group_segment_fixed_size: 0
    .kernarg_segment_align: 8
    .kernarg_segment_size: 288
    .language:       OpenCL C
    .language_version:
      - 2
      - 0
    .max_flat_workgroup_size: 128
    .name:           _ZN12_GLOBAL__N_141elementwise_kernel_with_index_grid_strideIlZZZN2at6native15arange_cuda_outERKN3c106ScalarES6_S6_RNS1_6TensorEENKUlvE_clEvENKUlvE_clEvEUllE_EEvT_T0_PN15function_traitsISD_E11result_typeE
    .private_segment_fixed_size: 0
    .sgpr_count:     51
    .sgpr_spill_count: 0
    .symbol:         _ZN12_GLOBAL__N_141elementwise_kernel_with_index_grid_strideIlZZZN2at6native15arange_cuda_outERKN3c106ScalarES6_S6_RNS1_6TensorEENKUlvE_clEvENKUlvE_clEvEUllE_EEvT_T0_PN15function_traitsISD_E11result_typeE.kd
    .uniform_work_group_size: 1
    .uses_dynamic_stack: false
    .vgpr_count:     21
    .vgpr_spill_count: 0
    .wavefront_size: 64
  - .args:
      - .offset:         0
        .size:           4
        .value_kind:     by_value
      - .offset:         8
        .size:           16
        .value_kind:     by_value
      - .address_space:  global
        .offset:         24
        .size:           8
        .value_kind:     global_buffer
      - .offset:         32
        .size:           4
        .value_kind:     hidden_block_count_x
      - .offset:         36
        .size:           4
        .value_kind:     hidden_block_count_y
      - .offset:         40
        .size:           4
        .value_kind:     hidden_block_count_z
      - .offset:         44
        .size:           2
        .value_kind:     hidden_group_size_x
      - .offset:         46
        .size:           2
        .value_kind:     hidden_group_size_y
      - .offset:         48
        .size:           2
        .value_kind:     hidden_group_size_z
      - .offset:         50
        .size:           2
        .value_kind:     hidden_remainder_x
      - .offset:         52
        .size:           2
        .value_kind:     hidden_remainder_y
      - .offset:         54
        .size:           2
        .value_kind:     hidden_remainder_z
      - .offset:         72
        .size:           8
        .value_kind:     hidden_global_offset_x
      - .offset:         80
        .size:           8
        .value_kind:     hidden_global_offset_y
      - .offset:         88
        .size:           8
        .value_kind:     hidden_global_offset_z
      - .offset:         96
        .size:           2
        .value_kind:     hidden_grid_dims
    .group_segment_fixed_size: 0
    .kernarg_segment_align: 8
    .kernarg_segment_size: 288
    .language:       OpenCL C
    .language_version:
      - 2
      - 0
    .max_flat_workgroup_size: 128
    .name:           _ZN12_GLOBAL__N_141elementwise_kernel_with_index_grid_strideIiZZZN2at6native15arange_cuda_outERKN3c106ScalarES6_S6_RNS1_6TensorEENKUlvE_clEvENKUlvE0_clEvEUllE_EEvT_T0_PN15function_traitsISD_E11result_typeE
    .private_segment_fixed_size: 0
    .sgpr_count:     26
    .sgpr_spill_count: 0
    .symbol:         _ZN12_GLOBAL__N_141elementwise_kernel_with_index_grid_strideIiZZZN2at6native15arange_cuda_outERKN3c106ScalarES6_S6_RNS1_6TensorEENKUlvE_clEvENKUlvE0_clEvEUllE_EEvT_T0_PN15function_traitsISD_E11result_typeE.kd
    .uniform_work_group_size: 1
    .uses_dynamic_stack: false
    .vgpr_count:     24
    .vgpr_spill_count: 0
    .wavefront_size: 64
  - .args:
      - .offset:         0
        .size:           8
        .value_kind:     by_value
      - .offset:         8
        .size:           16
        .value_kind:     by_value
      - .address_space:  global
        .offset:         24
        .size:           8
        .value_kind:     global_buffer
      - .offset:         32
        .size:           4
        .value_kind:     hidden_block_count_x
      - .offset:         36
        .size:           4
        .value_kind:     hidden_block_count_y
      - .offset:         40
        .size:           4
        .value_kind:     hidden_block_count_z
      - .offset:         44
        .size:           2
        .value_kind:     hidden_group_size_x
      - .offset:         46
        .size:           2
        .value_kind:     hidden_group_size_y
      - .offset:         48
        .size:           2
        .value_kind:     hidden_group_size_z
      - .offset:         50
        .size:           2
        .value_kind:     hidden_remainder_x
      - .offset:         52
        .size:           2
        .value_kind:     hidden_remainder_y
      - .offset:         54
        .size:           2
        .value_kind:     hidden_remainder_z
      - .offset:         72
        .size:           8
        .value_kind:     hidden_global_offset_x
      - .offset:         80
        .size:           8
        .value_kind:     hidden_global_offset_y
      - .offset:         88
        .size:           8
        .value_kind:     hidden_global_offset_z
      - .offset:         96
        .size:           2
        .value_kind:     hidden_grid_dims
    .group_segment_fixed_size: 0
    .kernarg_segment_align: 8
    .kernarg_segment_size: 288
    .language:       OpenCL C
    .language_version:
      - 2
      - 0
    .max_flat_workgroup_size: 128
    .name:           _ZN12_GLOBAL__N_141elementwise_kernel_with_index_grid_strideIlZZZN2at6native15arange_cuda_outERKN3c106ScalarES6_S6_RNS1_6TensorEENKUlvE_clEvENKUlvE0_clEvEUllE_EEvT_T0_PN15function_traitsISD_E11result_typeE
    .private_segment_fixed_size: 0
    .sgpr_count:     51
    .sgpr_spill_count: 0
    .symbol:         _ZN12_GLOBAL__N_141elementwise_kernel_with_index_grid_strideIlZZZN2at6native15arange_cuda_outERKN3c106ScalarES6_S6_RNS1_6TensorEENKUlvE_clEvENKUlvE0_clEvEUllE_EEvT_T0_PN15function_traitsISD_E11result_typeE.kd
    .uniform_work_group_size: 1
    .uses_dynamic_stack: false
    .vgpr_count:     21
    .vgpr_spill_count: 0
    .wavefront_size: 64
  - .args:
      - .offset:         0
        .size:           4
        .value_kind:     by_value
      - .offset:         8
        .size:           16
        .value_kind:     by_value
      - .address_space:  global
        .offset:         24
        .size:           8
        .value_kind:     global_buffer
      - .offset:         32
        .size:           4
        .value_kind:     hidden_block_count_x
      - .offset:         36
        .size:           4
        .value_kind:     hidden_block_count_y
      - .offset:         40
        .size:           4
        .value_kind:     hidden_block_count_z
      - .offset:         44
        .size:           2
        .value_kind:     hidden_group_size_x
      - .offset:         46
        .size:           2
        .value_kind:     hidden_group_size_y
      - .offset:         48
        .size:           2
        .value_kind:     hidden_group_size_z
      - .offset:         50
        .size:           2
        .value_kind:     hidden_remainder_x
      - .offset:         52
        .size:           2
        .value_kind:     hidden_remainder_y
      - .offset:         54
        .size:           2
        .value_kind:     hidden_remainder_z
      - .offset:         72
        .size:           8
        .value_kind:     hidden_global_offset_x
      - .offset:         80
        .size:           8
        .value_kind:     hidden_global_offset_y
      - .offset:         88
        .size:           8
        .value_kind:     hidden_global_offset_z
      - .offset:         96
        .size:           2
        .value_kind:     hidden_grid_dims
    .group_segment_fixed_size: 0
    .kernarg_segment_align: 8
    .kernarg_segment_size: 288
    .language:       OpenCL C
    .language_version:
      - 2
      - 0
    .max_flat_workgroup_size: 128
    .name:           _ZN12_GLOBAL__N_141elementwise_kernel_with_index_grid_strideIiZZZN2at6native15arange_cuda_outERKN3c106ScalarES6_S6_RNS1_6TensorEENKUlvE_clEvENKUlvE1_clEvEUllE_EEvT_T0_PN15function_traitsISD_E11result_typeE
    .private_segment_fixed_size: 0
    .sgpr_count:     18
    .sgpr_spill_count: 0
    .symbol:         _ZN12_GLOBAL__N_141elementwise_kernel_with_index_grid_strideIiZZZN2at6native15arange_cuda_outERKN3c106ScalarES6_S6_RNS1_6TensorEENKUlvE_clEvENKUlvE1_clEvEUllE_EEvT_T0_PN15function_traitsISD_E11result_typeE.kd
    .uniform_work_group_size: 1
    .uses_dynamic_stack: false
    .vgpr_count:     5
    .vgpr_spill_count: 0
    .wavefront_size: 64
  - .args:
      - .offset:         0
        .size:           8
        .value_kind:     by_value
      - .offset:         8
        .size:           16
        .value_kind:     by_value
      - .address_space:  global
        .offset:         24
        .size:           8
        .value_kind:     global_buffer
      - .offset:         32
        .size:           4
        .value_kind:     hidden_block_count_x
      - .offset:         36
        .size:           4
        .value_kind:     hidden_block_count_y
      - .offset:         40
        .size:           4
        .value_kind:     hidden_block_count_z
      - .offset:         44
        .size:           2
        .value_kind:     hidden_group_size_x
      - .offset:         46
        .size:           2
        .value_kind:     hidden_group_size_y
      - .offset:         48
        .size:           2
        .value_kind:     hidden_group_size_z
      - .offset:         50
        .size:           2
        .value_kind:     hidden_remainder_x
      - .offset:         52
        .size:           2
        .value_kind:     hidden_remainder_y
      - .offset:         54
        .size:           2
        .value_kind:     hidden_remainder_z
      - .offset:         72
        .size:           8
        .value_kind:     hidden_global_offset_x
      - .offset:         80
        .size:           8
        .value_kind:     hidden_global_offset_y
      - .offset:         88
        .size:           8
        .value_kind:     hidden_global_offset_z
      - .offset:         96
        .size:           2
        .value_kind:     hidden_grid_dims
    .group_segment_fixed_size: 0
    .kernarg_segment_align: 8
    .kernarg_segment_size: 288
    .language:       OpenCL C
    .language_version:
      - 2
      - 0
    .max_flat_workgroup_size: 128
    .name:           _ZN12_GLOBAL__N_141elementwise_kernel_with_index_grid_strideIlZZZN2at6native15arange_cuda_outERKN3c106ScalarES6_S6_RNS1_6TensorEENKUlvE_clEvENKUlvE1_clEvEUllE_EEvT_T0_PN15function_traitsISD_E11result_typeE
    .private_segment_fixed_size: 0
    .sgpr_count:     20
    .sgpr_spill_count: 0
    .symbol:         _ZN12_GLOBAL__N_141elementwise_kernel_with_index_grid_strideIlZZZN2at6native15arange_cuda_outERKN3c106ScalarES6_S6_RNS1_6TensorEENKUlvE_clEvENKUlvE1_clEvEUllE_EEvT_T0_PN15function_traitsISD_E11result_typeE.kd
    .uniform_work_group_size: 1
    .uses_dynamic_stack: false
    .vgpr_count:     7
    .vgpr_spill_count: 0
    .wavefront_size: 64
  - .args:
      - .offset:         0
        .size:           4
        .value_kind:     by_value
      - .offset:         8
        .size:           16
        .value_kind:     by_value
      - .address_space:  global
        .offset:         24
        .size:           8
        .value_kind:     global_buffer
      - .offset:         32
        .size:           4
        .value_kind:     hidden_block_count_x
      - .offset:         36
        .size:           4
        .value_kind:     hidden_block_count_y
      - .offset:         40
        .size:           4
        .value_kind:     hidden_block_count_z
      - .offset:         44
        .size:           2
        .value_kind:     hidden_group_size_x
      - .offset:         46
        .size:           2
        .value_kind:     hidden_group_size_y
      - .offset:         48
        .size:           2
        .value_kind:     hidden_group_size_z
      - .offset:         50
        .size:           2
        .value_kind:     hidden_remainder_x
      - .offset:         52
        .size:           2
        .value_kind:     hidden_remainder_y
      - .offset:         54
        .size:           2
        .value_kind:     hidden_remainder_z
      - .offset:         72
        .size:           8
        .value_kind:     hidden_global_offset_x
      - .offset:         80
        .size:           8
        .value_kind:     hidden_global_offset_y
      - .offset:         88
        .size:           8
        .value_kind:     hidden_global_offset_z
      - .offset:         96
        .size:           2
        .value_kind:     hidden_grid_dims
    .group_segment_fixed_size: 0
    .kernarg_segment_align: 8
    .kernarg_segment_size: 288
    .language:       OpenCL C
    .language_version:
      - 2
      - 0
    .max_flat_workgroup_size: 128
    .name:           _ZN12_GLOBAL__N_141elementwise_kernel_with_index_grid_strideIiZZZN2at6native15arange_cuda_outERKN3c106ScalarES6_S6_RNS1_6TensorEENKUlvE_clEvENKUlvE2_clEvEUllE_EEvT_T0_PN15function_traitsISD_E11result_typeE
    .private_segment_fixed_size: 0
    .sgpr_count:     20
    .sgpr_spill_count: 0
    .symbol:         _ZN12_GLOBAL__N_141elementwise_kernel_with_index_grid_strideIiZZZN2at6native15arange_cuda_outERKN3c106ScalarES6_S6_RNS1_6TensorEENKUlvE_clEvENKUlvE2_clEvEUllE_EEvT_T0_PN15function_traitsISD_E11result_typeE.kd
    .uniform_work_group_size: 1
    .uses_dynamic_stack: false
    .vgpr_count:     9
    .vgpr_spill_count: 0
    .wavefront_size: 64
  - .args:
      - .offset:         0
        .size:           8
        .value_kind:     by_value
      - .offset:         8
        .size:           16
        .value_kind:     by_value
      - .address_space:  global
        .offset:         24
        .size:           8
        .value_kind:     global_buffer
      - .offset:         32
        .size:           4
        .value_kind:     hidden_block_count_x
      - .offset:         36
        .size:           4
        .value_kind:     hidden_block_count_y
      - .offset:         40
        .size:           4
        .value_kind:     hidden_block_count_z
      - .offset:         44
        .size:           2
        .value_kind:     hidden_group_size_x
      - .offset:         46
        .size:           2
        .value_kind:     hidden_group_size_y
      - .offset:         48
        .size:           2
        .value_kind:     hidden_group_size_z
      - .offset:         50
        .size:           2
        .value_kind:     hidden_remainder_x
      - .offset:         52
        .size:           2
        .value_kind:     hidden_remainder_y
      - .offset:         54
        .size:           2
        .value_kind:     hidden_remainder_z
      - .offset:         72
        .size:           8
        .value_kind:     hidden_global_offset_x
      - .offset:         80
        .size:           8
        .value_kind:     hidden_global_offset_y
      - .offset:         88
        .size:           8
        .value_kind:     hidden_global_offset_z
      - .offset:         96
        .size:           2
        .value_kind:     hidden_grid_dims
    .group_segment_fixed_size: 0
    .kernarg_segment_align: 8
    .kernarg_segment_size: 288
    .language:       OpenCL C
    .language_version:
      - 2
      - 0
    .max_flat_workgroup_size: 128
    .name:           _ZN12_GLOBAL__N_141elementwise_kernel_with_index_grid_strideIlZZZN2at6native15arange_cuda_outERKN3c106ScalarES6_S6_RNS1_6TensorEENKUlvE_clEvENKUlvE2_clEvEUllE_EEvT_T0_PN15function_traitsISD_E11result_typeE
    .private_segment_fixed_size: 0
    .sgpr_count:     20
    .sgpr_spill_count: 0
    .symbol:         _ZN12_GLOBAL__N_141elementwise_kernel_with_index_grid_strideIlZZZN2at6native15arange_cuda_outERKN3c106ScalarES6_S6_RNS1_6TensorEENKUlvE_clEvENKUlvE2_clEvEUllE_EEvT_T0_PN15function_traitsISD_E11result_typeE.kd
    .uniform_work_group_size: 1
    .uses_dynamic_stack: false
    .vgpr_count:     9
    .vgpr_spill_count: 0
    .wavefront_size: 64
  - .args:
      - .offset:         0
        .size:           4
        .value_kind:     by_value
      - .offset:         8
        .size:           16
        .value_kind:     by_value
      - .address_space:  global
        .offset:         24
        .size:           8
        .value_kind:     global_buffer
      - .offset:         32
        .size:           4
        .value_kind:     hidden_block_count_x
      - .offset:         36
        .size:           4
        .value_kind:     hidden_block_count_y
      - .offset:         40
        .size:           4
        .value_kind:     hidden_block_count_z
      - .offset:         44
        .size:           2
        .value_kind:     hidden_group_size_x
      - .offset:         46
        .size:           2
        .value_kind:     hidden_group_size_y
      - .offset:         48
        .size:           2
        .value_kind:     hidden_group_size_z
      - .offset:         50
        .size:           2
        .value_kind:     hidden_remainder_x
      - .offset:         52
        .size:           2
        .value_kind:     hidden_remainder_y
      - .offset:         54
        .size:           2
        .value_kind:     hidden_remainder_z
      - .offset:         72
        .size:           8
        .value_kind:     hidden_global_offset_x
      - .offset:         80
        .size:           8
        .value_kind:     hidden_global_offset_y
      - .offset:         88
        .size:           8
        .value_kind:     hidden_global_offset_z
      - .offset:         96
        .size:           2
        .value_kind:     hidden_grid_dims
    .group_segment_fixed_size: 0
    .kernarg_segment_align: 8
    .kernarg_segment_size: 288
    .language:       OpenCL C
    .language_version:
      - 2
      - 0
    .max_flat_workgroup_size: 128
    .name:           _ZN12_GLOBAL__N_141elementwise_kernel_with_index_grid_strideIiZZZN2at6native15arange_cuda_outERKN3c106ScalarES6_S6_RNS1_6TensorEENKUlvE_clEvENKUlvE3_clEvEUllE_EEvT_T0_PN15function_traitsISD_E11result_typeE
    .private_segment_fixed_size: 0
    .sgpr_count:     22
    .sgpr_spill_count: 0
    .symbol:         _ZN12_GLOBAL__N_141elementwise_kernel_with_index_grid_strideIiZZZN2at6native15arange_cuda_outERKN3c106ScalarES6_S6_RNS1_6TensorEENKUlvE_clEvENKUlvE3_clEvEUllE_EEvT_T0_PN15function_traitsISD_E11result_typeE.kd
    .uniform_work_group_size: 1
    .uses_dynamic_stack: false
    .vgpr_count:     13
    .vgpr_spill_count: 0
    .wavefront_size: 64
  - .args:
      - .offset:         0
        .size:           8
        .value_kind:     by_value
      - .offset:         8
        .size:           16
        .value_kind:     by_value
      - .address_space:  global
        .offset:         24
        .size:           8
        .value_kind:     global_buffer
      - .offset:         32
        .size:           4
        .value_kind:     hidden_block_count_x
      - .offset:         36
        .size:           4
        .value_kind:     hidden_block_count_y
      - .offset:         40
        .size:           4
        .value_kind:     hidden_block_count_z
      - .offset:         44
        .size:           2
        .value_kind:     hidden_group_size_x
      - .offset:         46
        .size:           2
        .value_kind:     hidden_group_size_y
      - .offset:         48
        .size:           2
        .value_kind:     hidden_group_size_z
      - .offset:         50
        .size:           2
        .value_kind:     hidden_remainder_x
      - .offset:         52
        .size:           2
        .value_kind:     hidden_remainder_y
      - .offset:         54
        .size:           2
        .value_kind:     hidden_remainder_z
      - .offset:         72
        .size:           8
        .value_kind:     hidden_global_offset_x
      - .offset:         80
        .size:           8
        .value_kind:     hidden_global_offset_y
      - .offset:         88
        .size:           8
        .value_kind:     hidden_global_offset_z
      - .offset:         96
        .size:           2
        .value_kind:     hidden_grid_dims
    .group_segment_fixed_size: 0
    .kernarg_segment_align: 8
    .kernarg_segment_size: 288
    .language:       OpenCL C
    .language_version:
      - 2
      - 0
    .max_flat_workgroup_size: 128
    .name:           _ZN12_GLOBAL__N_141elementwise_kernel_with_index_grid_strideIlZZZN2at6native15arange_cuda_outERKN3c106ScalarES6_S6_RNS1_6TensorEENKUlvE_clEvENKUlvE3_clEvEUllE_EEvT_T0_PN15function_traitsISD_E11result_typeE
    .private_segment_fixed_size: 0
    .sgpr_count:     29
    .sgpr_spill_count: 0
    .symbol:         _ZN12_GLOBAL__N_141elementwise_kernel_with_index_grid_strideIlZZZN2at6native15arange_cuda_outERKN3c106ScalarES6_S6_RNS1_6TensorEENKUlvE_clEvENKUlvE3_clEvEUllE_EEvT_T0_PN15function_traitsISD_E11result_typeE.kd
    .uniform_work_group_size: 1
    .uses_dynamic_stack: false
    .vgpr_count:     22
    .vgpr_spill_count: 0
    .wavefront_size: 64
  - .args:
      - .offset:         0
        .size:           4
        .value_kind:     by_value
      - .offset:         8
        .size:           16
        .value_kind:     by_value
      - .address_space:  global
        .offset:         24
        .size:           8
        .value_kind:     global_buffer
      - .offset:         32
        .size:           4
        .value_kind:     hidden_block_count_x
      - .offset:         36
        .size:           4
        .value_kind:     hidden_block_count_y
      - .offset:         40
        .size:           4
        .value_kind:     hidden_block_count_z
      - .offset:         44
        .size:           2
        .value_kind:     hidden_group_size_x
      - .offset:         46
        .size:           2
        .value_kind:     hidden_group_size_y
      - .offset:         48
        .size:           2
        .value_kind:     hidden_group_size_z
      - .offset:         50
        .size:           2
        .value_kind:     hidden_remainder_x
      - .offset:         52
        .size:           2
        .value_kind:     hidden_remainder_y
      - .offset:         54
        .size:           2
        .value_kind:     hidden_remainder_z
      - .offset:         72
        .size:           8
        .value_kind:     hidden_global_offset_x
      - .offset:         80
        .size:           8
        .value_kind:     hidden_global_offset_y
      - .offset:         88
        .size:           8
        .value_kind:     hidden_global_offset_z
      - .offset:         96
        .size:           2
        .value_kind:     hidden_grid_dims
    .group_segment_fixed_size: 0
    .kernarg_segment_align: 8
    .kernarg_segment_size: 288
    .language:       OpenCL C
    .language_version:
      - 2
      - 0
    .max_flat_workgroup_size: 128
    .name:           _ZN12_GLOBAL__N_141elementwise_kernel_with_index_grid_strideIiZZZN2at6native15arange_cuda_outERKN3c106ScalarES6_S6_RNS1_6TensorEENKUlvE_clEvENKUlvE4_clEvEUllE_EEvT_T0_PN15function_traitsISD_E11result_typeE
    .private_segment_fixed_size: 0
    .sgpr_count:     18
    .sgpr_spill_count: 0
    .symbol:         _ZN12_GLOBAL__N_141elementwise_kernel_with_index_grid_strideIiZZZN2at6native15arange_cuda_outERKN3c106ScalarES6_S6_RNS1_6TensorEENKUlvE_clEvENKUlvE4_clEvEUllE_EEvT_T0_PN15function_traitsISD_E11result_typeE.kd
    .uniform_work_group_size: 1
    .uses_dynamic_stack: false
    .vgpr_count:     8
    .vgpr_spill_count: 0
    .wavefront_size: 64
  - .args:
      - .offset:         0
        .size:           8
        .value_kind:     by_value
      - .offset:         8
        .size:           16
        .value_kind:     by_value
      - .address_space:  global
        .offset:         24
        .size:           8
        .value_kind:     global_buffer
      - .offset:         32
        .size:           4
        .value_kind:     hidden_block_count_x
      - .offset:         36
        .size:           4
        .value_kind:     hidden_block_count_y
      - .offset:         40
        .size:           4
        .value_kind:     hidden_block_count_z
      - .offset:         44
        .size:           2
        .value_kind:     hidden_group_size_x
      - .offset:         46
        .size:           2
        .value_kind:     hidden_group_size_y
      - .offset:         48
        .size:           2
        .value_kind:     hidden_group_size_z
      - .offset:         50
        .size:           2
        .value_kind:     hidden_remainder_x
      - .offset:         52
        .size:           2
        .value_kind:     hidden_remainder_y
      - .offset:         54
        .size:           2
        .value_kind:     hidden_remainder_z
      - .offset:         72
        .size:           8
        .value_kind:     hidden_global_offset_x
      - .offset:         80
        .size:           8
        .value_kind:     hidden_global_offset_y
      - .offset:         88
        .size:           8
        .value_kind:     hidden_global_offset_z
      - .offset:         96
        .size:           2
        .value_kind:     hidden_grid_dims
    .group_segment_fixed_size: 0
    .kernarg_segment_align: 8
    .kernarg_segment_size: 288
    .language:       OpenCL C
    .language_version:
      - 2
      - 0
    .max_flat_workgroup_size: 128
    .name:           _ZN12_GLOBAL__N_141elementwise_kernel_with_index_grid_strideIlZZZN2at6native15arange_cuda_outERKN3c106ScalarES6_S6_RNS1_6TensorEENKUlvE_clEvENKUlvE4_clEvEUllE_EEvT_T0_PN15function_traitsISD_E11result_typeE
    .private_segment_fixed_size: 0
    .sgpr_count:     20
    .sgpr_spill_count: 0
    .symbol:         _ZN12_GLOBAL__N_141elementwise_kernel_with_index_grid_strideIlZZZN2at6native15arange_cuda_outERKN3c106ScalarES6_S6_RNS1_6TensorEENKUlvE_clEvENKUlvE4_clEvEUllE_EEvT_T0_PN15function_traitsISD_E11result_typeE.kd
    .uniform_work_group_size: 1
    .uses_dynamic_stack: false
    .vgpr_count:     12
    .vgpr_spill_count: 0
    .wavefront_size: 64
  - .args:
      - .offset:         0
        .size:           4
        .value_kind:     by_value
      - .offset:         4
        .size:           8
        .value_kind:     by_value
      - .address_space:  global
        .offset:         16
        .size:           8
        .value_kind:     global_buffer
      - .offset:         24
        .size:           4
        .value_kind:     hidden_block_count_x
      - .offset:         28
        .size:           4
        .value_kind:     hidden_block_count_y
      - .offset:         32
        .size:           4
        .value_kind:     hidden_block_count_z
      - .offset:         36
        .size:           2
        .value_kind:     hidden_group_size_x
      - .offset:         38
        .size:           2
        .value_kind:     hidden_group_size_y
      - .offset:         40
        .size:           2
        .value_kind:     hidden_group_size_z
      - .offset:         42
        .size:           2
        .value_kind:     hidden_remainder_x
      - .offset:         44
        .size:           2
        .value_kind:     hidden_remainder_y
      - .offset:         46
        .size:           2
        .value_kind:     hidden_remainder_z
      - .offset:         64
        .size:           8
        .value_kind:     hidden_global_offset_x
      - .offset:         72
        .size:           8
        .value_kind:     hidden_global_offset_y
      - .offset:         80
        .size:           8
        .value_kind:     hidden_global_offset_z
      - .offset:         88
        .size:           2
        .value_kind:     hidden_grid_dims
    .group_segment_fixed_size: 0
    .kernarg_segment_align: 8
    .kernarg_segment_size: 280
    .language:       OpenCL C
    .language_version:
      - 2
      - 0
    .max_flat_workgroup_size: 128
    .name:           _ZN12_GLOBAL__N_141elementwise_kernel_with_index_grid_strideIiZZZN2at6native15arange_cuda_outERKN3c106ScalarES6_S6_RNS1_6TensorEENKUlvE_clEvENKUlvE5_clEvEUllE_EEvT_T0_PN15function_traitsISD_E11result_typeE
    .private_segment_fixed_size: 0
    .sgpr_count:     15
    .sgpr_spill_count: 0
    .symbol:         _ZN12_GLOBAL__N_141elementwise_kernel_with_index_grid_strideIiZZZN2at6native15arange_cuda_outERKN3c106ScalarES6_S6_RNS1_6TensorEENKUlvE_clEvENKUlvE5_clEvEUllE_EEvT_T0_PN15function_traitsISD_E11result_typeE.kd
    .uniform_work_group_size: 1
    .uses_dynamic_stack: false
    .vgpr_count:     6
    .vgpr_spill_count: 0
    .wavefront_size: 64
  - .args:
      - .offset:         0
        .size:           8
        .value_kind:     by_value
      - .offset:         8
        .size:           8
        .value_kind:     by_value
      - .address_space:  global
        .offset:         16
        .size:           8
        .value_kind:     global_buffer
      - .offset:         24
        .size:           4
        .value_kind:     hidden_block_count_x
      - .offset:         28
        .size:           4
        .value_kind:     hidden_block_count_y
      - .offset:         32
        .size:           4
        .value_kind:     hidden_block_count_z
      - .offset:         36
        .size:           2
        .value_kind:     hidden_group_size_x
      - .offset:         38
        .size:           2
        .value_kind:     hidden_group_size_y
      - .offset:         40
        .size:           2
        .value_kind:     hidden_group_size_z
      - .offset:         42
        .size:           2
        .value_kind:     hidden_remainder_x
      - .offset:         44
        .size:           2
        .value_kind:     hidden_remainder_y
      - .offset:         46
        .size:           2
        .value_kind:     hidden_remainder_z
      - .offset:         64
        .size:           8
        .value_kind:     hidden_global_offset_x
      - .offset:         72
        .size:           8
        .value_kind:     hidden_global_offset_y
      - .offset:         80
        .size:           8
        .value_kind:     hidden_global_offset_z
      - .offset:         88
        .size:           2
        .value_kind:     hidden_grid_dims
    .group_segment_fixed_size: 0
    .kernarg_segment_align: 8
    .kernarg_segment_size: 280
    .language:       OpenCL C
    .language_version:
      - 2
      - 0
    .max_flat_workgroup_size: 128
    .name:           _ZN12_GLOBAL__N_141elementwise_kernel_with_index_grid_strideIlZZZN2at6native15arange_cuda_outERKN3c106ScalarES6_S6_RNS1_6TensorEENKUlvE_clEvENKUlvE5_clEvEUllE_EEvT_T0_PN15function_traitsISD_E11result_typeE
    .private_segment_fixed_size: 0
    .sgpr_count:     16
    .sgpr_spill_count: 0
    .symbol:         _ZN12_GLOBAL__N_141elementwise_kernel_with_index_grid_strideIlZZZN2at6native15arange_cuda_outERKN3c106ScalarES6_S6_RNS1_6TensorEENKUlvE_clEvENKUlvE5_clEvEUllE_EEvT_T0_PN15function_traitsISD_E11result_typeE.kd
    .uniform_work_group_size: 1
    .uses_dynamic_stack: false
    .vgpr_count:     10
    .vgpr_spill_count: 0
    .wavefront_size: 64
  - .args:
      - .offset:         0
        .size:           4
        .value_kind:     by_value
      - .offset:         4
        .size:           8
        .value_kind:     by_value
      - .address_space:  global
        .offset:         16
        .size:           8
        .value_kind:     global_buffer
      - .offset:         24
        .size:           4
        .value_kind:     hidden_block_count_x
      - .offset:         28
        .size:           4
        .value_kind:     hidden_block_count_y
      - .offset:         32
        .size:           4
        .value_kind:     hidden_block_count_z
      - .offset:         36
        .size:           2
        .value_kind:     hidden_group_size_x
      - .offset:         38
        .size:           2
        .value_kind:     hidden_group_size_y
      - .offset:         40
        .size:           2
        .value_kind:     hidden_group_size_z
      - .offset:         42
        .size:           2
        .value_kind:     hidden_remainder_x
      - .offset:         44
        .size:           2
        .value_kind:     hidden_remainder_y
      - .offset:         46
        .size:           2
        .value_kind:     hidden_remainder_z
      - .offset:         64
        .size:           8
        .value_kind:     hidden_global_offset_x
      - .offset:         72
        .size:           8
        .value_kind:     hidden_global_offset_y
      - .offset:         80
        .size:           8
        .value_kind:     hidden_global_offset_z
      - .offset:         88
        .size:           2
        .value_kind:     hidden_grid_dims
    .group_segment_fixed_size: 0
    .kernarg_segment_align: 8
    .kernarg_segment_size: 280
    .language:       OpenCL C
    .language_version:
      - 2
      - 0
    .max_flat_workgroup_size: 128
    .name:           _ZN12_GLOBAL__N_141elementwise_kernel_with_index_grid_strideIiZZZN2at6native15arange_cuda_outERKN3c106ScalarES6_S6_RNS1_6TensorEENKUlvE_clEvENKUlvE6_clEvEUllE_EEvT_T0_PN15function_traitsISD_E11result_typeE
    .private_segment_fixed_size: 0
    .sgpr_count:     18
    .sgpr_spill_count: 0
    .symbol:         _ZN12_GLOBAL__N_141elementwise_kernel_with_index_grid_strideIiZZZN2at6native15arange_cuda_outERKN3c106ScalarES6_S6_RNS1_6TensorEENKUlvE_clEvENKUlvE6_clEvEUllE_EEvT_T0_PN15function_traitsISD_E11result_typeE.kd
    .uniform_work_group_size: 1
    .uses_dynamic_stack: false
    .vgpr_count:     15
    .vgpr_spill_count: 0
    .wavefront_size: 64
  - .args:
      - .offset:         0
        .size:           8
        .value_kind:     by_value
      - .offset:         8
        .size:           8
        .value_kind:     by_value
      - .address_space:  global
        .offset:         16
        .size:           8
        .value_kind:     global_buffer
      - .offset:         24
        .size:           4
        .value_kind:     hidden_block_count_x
      - .offset:         28
        .size:           4
        .value_kind:     hidden_block_count_y
      - .offset:         32
        .size:           4
        .value_kind:     hidden_block_count_z
      - .offset:         36
        .size:           2
        .value_kind:     hidden_group_size_x
      - .offset:         38
        .size:           2
        .value_kind:     hidden_group_size_y
      - .offset:         40
        .size:           2
        .value_kind:     hidden_group_size_z
      - .offset:         42
        .size:           2
        .value_kind:     hidden_remainder_x
      - .offset:         44
        .size:           2
        .value_kind:     hidden_remainder_y
      - .offset:         46
        .size:           2
        .value_kind:     hidden_remainder_z
      - .offset:         64
        .size:           8
        .value_kind:     hidden_global_offset_x
      - .offset:         72
        .size:           8
        .value_kind:     hidden_global_offset_y
      - .offset:         80
        .size:           8
        .value_kind:     hidden_global_offset_z
      - .offset:         88
        .size:           2
        .value_kind:     hidden_grid_dims
    .group_segment_fixed_size: 0
    .kernarg_segment_align: 8
    .kernarg_segment_size: 280
    .language:       OpenCL C
    .language_version:
      - 2
      - 0
    .max_flat_workgroup_size: 128
    .name:           _ZN12_GLOBAL__N_141elementwise_kernel_with_index_grid_strideIlZZZN2at6native15arange_cuda_outERKN3c106ScalarES6_S6_RNS1_6TensorEENKUlvE_clEvENKUlvE6_clEvEUllE_EEvT_T0_PN15function_traitsISD_E11result_typeE
    .private_segment_fixed_size: 0
    .sgpr_count:     27
    .sgpr_spill_count: 0
    .symbol:         _ZN12_GLOBAL__N_141elementwise_kernel_with_index_grid_strideIlZZZN2at6native15arange_cuda_outERKN3c106ScalarES6_S6_RNS1_6TensorEENKUlvE_clEvENKUlvE6_clEvEUllE_EEvT_T0_PN15function_traitsISD_E11result_typeE.kd
    .uniform_work_group_size: 1
    .uses_dynamic_stack: false
    .vgpr_count:     25
    .vgpr_spill_count: 0
    .wavefront_size: 64
  - .args:
      - .offset:         0
        .size:           4
        .value_kind:     by_value
      - .offset:         4
        .size:           8
        .value_kind:     by_value
      - .address_space:  global
        .offset:         16
        .size:           8
        .value_kind:     global_buffer
      - .offset:         24
        .size:           4
        .value_kind:     hidden_block_count_x
      - .offset:         28
        .size:           4
        .value_kind:     hidden_block_count_y
      - .offset:         32
        .size:           4
        .value_kind:     hidden_block_count_z
      - .offset:         36
        .size:           2
        .value_kind:     hidden_group_size_x
      - .offset:         38
        .size:           2
        .value_kind:     hidden_group_size_y
      - .offset:         40
        .size:           2
        .value_kind:     hidden_group_size_z
      - .offset:         42
        .size:           2
        .value_kind:     hidden_remainder_x
      - .offset:         44
        .size:           2
        .value_kind:     hidden_remainder_y
      - .offset:         46
        .size:           2
        .value_kind:     hidden_remainder_z
      - .offset:         64
        .size:           8
        .value_kind:     hidden_global_offset_x
      - .offset:         72
        .size:           8
        .value_kind:     hidden_global_offset_y
      - .offset:         80
        .size:           8
        .value_kind:     hidden_global_offset_z
      - .offset:         88
        .size:           2
        .value_kind:     hidden_grid_dims
    .group_segment_fixed_size: 0
    .kernarg_segment_align: 8
    .kernarg_segment_size: 280
    .language:       OpenCL C
    .language_version:
      - 2
      - 0
    .max_flat_workgroup_size: 128
    .name:           _ZN12_GLOBAL__N_141elementwise_kernel_with_index_grid_strideIiZZZN2at6native15arange_cuda_outERKN3c106ScalarES6_S6_RNS1_6TensorEENKUlvE_clEvENKUlvE7_clEvEUllE_EEvT_T0_PN15function_traitsISD_E11result_typeE
    .private_segment_fixed_size: 0
    .sgpr_count:     20
    .sgpr_spill_count: 0
    .symbol:         _ZN12_GLOBAL__N_141elementwise_kernel_with_index_grid_strideIiZZZN2at6native15arange_cuda_outERKN3c106ScalarES6_S6_RNS1_6TensorEENKUlvE_clEvENKUlvE7_clEvEUllE_EEvT_T0_PN15function_traitsISD_E11result_typeE.kd
    .uniform_work_group_size: 1
    .uses_dynamic_stack: false
    .vgpr_count:     19
    .vgpr_spill_count: 0
    .wavefront_size: 64
  - .args:
      - .offset:         0
        .size:           8
        .value_kind:     by_value
      - .offset:         8
        .size:           8
        .value_kind:     by_value
      - .address_space:  global
        .offset:         16
        .size:           8
        .value_kind:     global_buffer
      - .offset:         24
        .size:           4
        .value_kind:     hidden_block_count_x
      - .offset:         28
        .size:           4
        .value_kind:     hidden_block_count_y
      - .offset:         32
        .size:           4
        .value_kind:     hidden_block_count_z
      - .offset:         36
        .size:           2
        .value_kind:     hidden_group_size_x
      - .offset:         38
        .size:           2
        .value_kind:     hidden_group_size_y
      - .offset:         40
        .size:           2
        .value_kind:     hidden_group_size_z
      - .offset:         42
        .size:           2
        .value_kind:     hidden_remainder_x
      - .offset:         44
        .size:           2
        .value_kind:     hidden_remainder_y
      - .offset:         46
        .size:           2
        .value_kind:     hidden_remainder_z
      - .offset:         64
        .size:           8
        .value_kind:     hidden_global_offset_x
      - .offset:         72
        .size:           8
        .value_kind:     hidden_global_offset_y
      - .offset:         80
        .size:           8
        .value_kind:     hidden_global_offset_z
      - .offset:         88
        .size:           2
        .value_kind:     hidden_grid_dims
    .group_segment_fixed_size: 0
    .kernarg_segment_align: 8
    .kernarg_segment_size: 280
    .language:       OpenCL C
    .language_version:
      - 2
      - 0
    .max_flat_workgroup_size: 128
    .name:           _ZN12_GLOBAL__N_141elementwise_kernel_with_index_grid_strideIlZZZN2at6native15arange_cuda_outERKN3c106ScalarES6_S6_RNS1_6TensorEENKUlvE_clEvENKUlvE7_clEvEUllE_EEvT_T0_PN15function_traitsISD_E11result_typeE
    .private_segment_fixed_size: 0
    .sgpr_count:     28
    .sgpr_spill_count: 0
    .symbol:         _ZN12_GLOBAL__N_141elementwise_kernel_with_index_grid_strideIlZZZN2at6native15arange_cuda_outERKN3c106ScalarES6_S6_RNS1_6TensorEENKUlvE_clEvENKUlvE7_clEvEUllE_EEvT_T0_PN15function_traitsISD_E11result_typeE.kd
    .uniform_work_group_size: 1
    .uses_dynamic_stack: false
    .vgpr_count:     27
    .vgpr_spill_count: 0
    .wavefront_size: 64
amdhsa.target:   amdgcn-amd-amdhsa--gfx906
amdhsa.version:
  - 1
  - 2
...

	.end_amdgpu_metadata
